;; amdgpu-corpus repo=ROCm/rocFFT kind=compiled arch=gfx906 opt=O3
	.text
	.amdgcn_target "amdgcn-amd-amdhsa--gfx906"
	.amdhsa_code_object_version 6
	.protected	bluestein_single_fwd_len1540_dim1_sp_op_CI_CI ; -- Begin function bluestein_single_fwd_len1540_dim1_sp_op_CI_CI
	.globl	bluestein_single_fwd_len1540_dim1_sp_op_CI_CI
	.p2align	8
	.type	bluestein_single_fwd_len1540_dim1_sp_op_CI_CI,@function
bluestein_single_fwd_len1540_dim1_sp_op_CI_CI: ; @bluestein_single_fwd_len1540_dim1_sp_op_CI_CI
; %bb.0:
	s_load_dwordx4 s[0:3], s[4:5], 0x28
	v_mul_u32_u24_e32 v1, 0x1aa, v0
	v_add_u32_sdwa v58, s6, v1 dst_sel:DWORD dst_unused:UNUSED_PAD src0_sel:DWORD src1_sel:WORD_1
	v_mov_b32_e32 v59, 0
	s_waitcnt lgkmcnt(0)
	v_cmp_gt_u64_e32 vcc, s[0:1], v[58:59]
	s_and_saveexec_b64 s[0:1], vcc
	s_cbranch_execz .LBB0_23
; %bb.1:
	s_load_dwordx2 s[10:11], s[4:5], 0x0
	s_load_dwordx2 s[8:9], s[4:5], 0x38
	s_movk_i32 s0, 0x9a
	v_mul_lo_u16_sdwa v1, v1, s0 dst_sel:DWORD dst_unused:UNUSED_PAD src0_sel:WORD_1 src1_sel:DWORD
	v_sub_u16_e32 v84, v0, v1
	s_movk_i32 s0, 0x8c
	v_cmp_gt_u16_e64 s[0:1], s0, v84
	v_lshlrev_b32_e32 v83, 3, v84
	s_and_saveexec_b64 s[6:7], s[0:1]
	s_cbranch_execz .LBB0_3
; %bb.2:
	s_load_dwordx2 s[12:13], s[4:5], 0x18
	s_waitcnt lgkmcnt(0)
	s_load_dwordx4 s[12:15], s[12:13], 0x0
	s_waitcnt lgkmcnt(0)
	v_mad_u64_u32 v[0:1], s[16:17], s14, v58, 0
	v_mad_u64_u32 v[2:3], s[16:17], s12, v84, 0
	;; [unrolled: 1-line block ×4, first 2 shown]
	v_mov_b32_e32 v1, v4
	v_lshlrev_b64 v[0:1], 3, v[0:1]
	v_mov_b32_e32 v3, v5
	v_mov_b32_e32 v6, s3
	v_lshlrev_b64 v[2:3], 3, v[2:3]
	v_add_co_u32_e32 v0, vcc, s2, v0
	v_addc_co_u32_e32 v1, vcc, v6, v1, vcc
	v_add_co_u32_e32 v0, vcc, v0, v2
	v_addc_co_u32_e32 v1, vcc, v1, v3, vcc
	v_mov_b32_e32 v2, s11
	v_add_co_u32_e32 v36, vcc, s10, v83
	s_mul_i32 s2, s13, 0x460
	s_mul_hi_u32 s3, s12, 0x460
	v_addc_co_u32_e32 v37, vcc, 0, v2, vcc
	s_add_i32 s2, s3, s2
	s_mul_i32 s3, s12, 0x460
	v_mov_b32_e32 v3, s2
	v_add_co_u32_e32 v2, vcc, s3, v0
	v_addc_co_u32_e32 v3, vcc, v1, v3, vcc
	v_mov_b32_e32 v5, s2
	v_add_co_u32_e32 v4, vcc, s3, v2
	v_addc_co_u32_e32 v5, vcc, v3, v5, vcc
	v_mov_b32_e32 v7, s2
	v_add_co_u32_e32 v6, vcc, s3, v4
	v_addc_co_u32_e32 v7, vcc, v5, v7, vcc
	global_load_dwordx2 v[8:9], v[0:1], off
	global_load_dwordx2 v[10:11], v[2:3], off
	;; [unrolled: 1-line block ×4, first 2 shown]
	global_load_dwordx2 v[16:17], v83, s[10:11]
	global_load_dwordx2 v[18:19], v83, s[10:11] offset:1120
	global_load_dwordx2 v[20:21], v83, s[10:11] offset:2240
	;; [unrolled: 1-line block ×3, first 2 shown]
	v_mov_b32_e32 v1, s2
	v_add_co_u32_e32 v0, vcc, s3, v6
	v_addc_co_u32_e32 v1, vcc, v7, v1, vcc
	s_movk_i32 s12, 0x1000
	v_add_co_u32_e32 v4, vcc, s12, v36
	v_addc_co_u32_e32 v5, vcc, 0, v37, vcc
	global_load_dwordx2 v[2:3], v[0:1], off
	v_mov_b32_e32 v6, s2
	v_add_co_u32_e32 v0, vcc, s3, v0
	v_addc_co_u32_e32 v1, vcc, v1, v6, vcc
	global_load_dwordx2 v[6:7], v[0:1], off
	v_mov_b32_e32 v24, s2
	;; [unrolled: 4-line block ×3, first 2 shown]
	v_add_co_u32_e32 v0, vcc, s3, v0
	v_addc_co_u32_e32 v1, vcc, v1, v26, vcc
	global_load_dwordx2 v[26:27], v[4:5], off offset:384
	global_load_dwordx2 v[28:29], v[0:1], off
	global_load_dwordx2 v[30:31], v[4:5], off offset:1504
	global_load_dwordx2 v[32:33], v[4:5], off offset:2624
	;; [unrolled: 1-line block ×3, first 2 shown]
	v_mov_b32_e32 v4, s2
	v_add_co_u32_e32 v0, vcc, s3, v0
	v_addc_co_u32_e32 v1, vcc, v1, v4, vcc
	s_movk_i32 s12, 0x2000
	v_add_co_u32_e32 v36, vcc, s12, v36
	v_addc_co_u32_e32 v37, vcc, 0, v37, vcc
	global_load_dwordx2 v[4:5], v[0:1], off
	v_mov_b32_e32 v40, s2
	v_add_co_u32_e32 v0, vcc, s3, v0
	v_addc_co_u32_e32 v1, vcc, v1, v40, vcc
	global_load_dwordx2 v[38:39], v[36:37], off offset:768
	global_load_dwordx2 v[40:41], v[0:1], off
	global_load_dwordx2 v[42:43], v[36:37], off offset:1888
	v_mov_b32_e32 v44, s2
	v_add_co_u32_e32 v0, vcc, s3, v0
	v_addc_co_u32_e32 v1, vcc, v1, v44, vcc
	global_load_dwordx2 v[44:45], v[0:1], off
	global_load_dwordx2 v[46:47], v[36:37], off offset:3008
	s_waitcnt vmcnt(17)
	v_mul_f32_e32 v0, v9, v17
	v_mul_f32_e32 v1, v8, v17
	v_fmac_f32_e32 v0, v8, v16
	v_fma_f32 v1, v9, v16, -v1
	s_waitcnt vmcnt(16)
	v_mul_f32_e32 v8, v11, v19
	v_mul_f32_e32 v9, v10, v19
	v_fmac_f32_e32 v8, v10, v18
	v_fma_f32 v9, v11, v18, -v9
	ds_write2_b64 v83, v[0:1], v[8:9] offset1:140
	s_waitcnt vmcnt(15)
	v_mul_f32_e32 v0, v13, v21
	v_mul_f32_e32 v1, v12, v21
	s_waitcnt vmcnt(14)
	v_mul_f32_e32 v8, v15, v23
	v_mul_f32_e32 v9, v14, v23
	v_fmac_f32_e32 v0, v12, v20
	v_fma_f32 v1, v13, v20, -v1
	v_fmac_f32_e32 v8, v14, v22
	v_fma_f32 v9, v15, v22, -v9
	v_add_u32_e32 v10, 0x800, v83
	ds_write2_b64 v10, v[0:1], v[8:9] offset0:24 offset1:164
	s_waitcnt vmcnt(10)
	v_mul_f32_e32 v0, v3, v27
	v_mul_f32_e32 v1, v2, v27
	v_fmac_f32_e32 v0, v2, v26
	v_fma_f32 v1, v3, v26, -v1
	s_waitcnt vmcnt(8)
	v_mul_f32_e32 v2, v7, v31
	v_mul_f32_e32 v3, v6, v31
	v_fmac_f32_e32 v2, v6, v30
	v_fma_f32 v3, v7, v30, -v3
	v_add_u32_e32 v6, 0x1000, v83
	ds_write2_b64 v6, v[0:1], v[2:3] offset0:48 offset1:188
	s_waitcnt vmcnt(7)
	v_mul_f32_e32 v0, v25, v33
	v_mul_f32_e32 v1, v24, v33
	s_waitcnt vmcnt(6)
	v_mul_f32_e32 v2, v29, v35
	v_mul_f32_e32 v3, v28, v35
	v_fmac_f32_e32 v0, v24, v32
	v_fma_f32 v1, v25, v32, -v1
	v_fmac_f32_e32 v2, v28, v34
	v_fma_f32 v3, v29, v34, -v3
	v_add_u32_e32 v6, 0x1800, v83
	ds_write2_b64 v6, v[0:1], v[2:3] offset0:72 offset1:212
	s_waitcnt vmcnt(4)
	v_mul_f32_e32 v0, v5, v39
	v_mul_f32_e32 v1, v4, v39
	s_waitcnt vmcnt(2)
	v_mul_f32_e32 v2, v41, v43
	v_mul_f32_e32 v3, v40, v43
	v_fmac_f32_e32 v0, v4, v38
	v_fma_f32 v1, v5, v38, -v1
	v_fmac_f32_e32 v2, v40, v42
	v_fma_f32 v3, v41, v42, -v3
	v_add_u32_e32 v4, 0x2000, v83
	ds_write2_b64 v4, v[0:1], v[2:3] offset0:96 offset1:236
	s_waitcnt vmcnt(0)
	v_mul_f32_e32 v0, v45, v47
	v_mul_f32_e32 v1, v44, v47
	v_fmac_f32_e32 v0, v44, v46
	v_fma_f32 v1, v45, v46, -v1
	ds_write_b64 v83, v[0:1] offset:11200
.LBB0_3:
	s_or_b64 exec, exec, s[6:7]
	s_load_dwordx2 s[2:3], s[4:5], 0x20
	s_load_dwordx2 s[12:13], s[4:5], 0x8
	v_mov_b32_e32 v0, 0
	v_mov_b32_e32 v1, 0
	s_waitcnt lgkmcnt(0)
	s_barrier
	s_waitcnt lgkmcnt(0)
                                        ; implicit-def: $vgpr20
                                        ; implicit-def: $vgpr18
                                        ; implicit-def: $vgpr14
                                        ; implicit-def: $vgpr10
                                        ; implicit-def: $vgpr6
	s_and_saveexec_b64 s[4:5], s[0:1]
	s_cbranch_execz .LBB0_5
; %bb.4:
	v_add_u32_e32 v4, 0x800, v83
	v_add_u32_e32 v8, 0x1000, v83
	;; [unrolled: 1-line block ×4, first 2 shown]
	ds_read2_b64 v[0:3], v83 offset1:140
	ds_read2_b64 v[4:7], v4 offset0:24 offset1:164
	ds_read2_b64 v[8:11], v8 offset0:48 offset1:188
	;; [unrolled: 1-line block ×4, first 2 shown]
	ds_read_b64 v[20:21], v83 offset:11200
.LBB0_5:
	s_or_b64 exec, exec, s[4:5]
	s_waitcnt lgkmcnt(0)
	v_sub_f32_e32 v49, v3, v21
	v_mul_f32_e32 v24, 0xbf0a6770, v49
	v_sub_f32_e32 v50, v5, v19
	v_add_f32_e32 v25, v20, v2
	v_sub_f32_e32 v41, v2, v20
	v_mov_b32_e32 v22, v24
	v_mul_f32_e32 v26, 0xbf68dda4, v50
	v_add_f32_e32 v27, v21, v3
	s_mov_b32 s6, 0x3f575c64
	v_mul_f32_e32 v30, 0xbf0a6770, v41
	v_fmac_f32_e32 v22, 0x3f575c64, v25
	v_add_f32_e32 v28, v18, v4
	v_sub_f32_e32 v45, v4, v18
	v_mov_b32_e32 v29, v26
	v_add_f32_e32 v22, v22, v0
	v_fma_f32 v23, v27, s6, -v30
	v_add_f32_e32 v31, v19, v5
	s_mov_b32 s7, 0x3ed4b147
	v_mul_f32_e32 v32, 0xbf68dda4, v45
	v_fmac_f32_e32 v29, 0x3ed4b147, v28
	v_add_f32_e32 v23, v23, v1
	v_add_f32_e32 v22, v29, v22
	v_fma_f32 v29, v31, s7, -v32
	v_sub_f32_e32 v51, v7, v17
	v_add_f32_e32 v23, v29, v23
	v_mul_f32_e32 v29, 0xbf7d64f0, v51
	v_add_f32_e32 v34, v16, v6
	v_sub_f32_e32 v46, v6, v16
	v_mov_b32_e32 v33, v29
	v_add_f32_e32 v35, v17, v7
	s_mov_b32 s14, 0xbe11bafb
	v_mul_f32_e32 v36, 0xbf7d64f0, v46
	v_fmac_f32_e32 v33, 0xbe11bafb, v34
	v_add_f32_e32 v22, v33, v22
	v_fma_f32 v33, v35, s14, -v36
	v_sub_f32_e32 v52, v9, v15
	v_add_f32_e32 v23, v33, v23
	v_mul_f32_e32 v33, 0xbf4178ce, v52
	v_add_f32_e32 v38, v14, v8
	v_sub_f32_e32 v47, v8, v14
	v_mov_b32_e32 v37, v33
	v_add_f32_e32 v39, v15, v9
	s_mov_b32 s15, 0xbf27a4f4
	v_mul_f32_e32 v40, 0xbf4178ce, v47
	v_fmac_f32_e32 v37, 0xbf27a4f4, v38
	;; [unrolled: 12-line block ×3, first 2 shown]
	v_add_f32_e32 v22, v54, v22
	v_fma_f32 v54, v43, s16, -v44
	v_add_f32_e32 v23, v54, v23
	v_mul_lo_u16_e32 v86, 11, v84
	s_barrier
	s_and_saveexec_b64 s[4:5], s[0:1]
	s_cbranch_execz .LBB0_7
; %bb.6:
	v_mul_f32_e32 v65, 0x3ed4b147, v27
	v_mov_b32_e32 v54, v65
	v_mul_f32_e32 v66, 0xbf27a4f4, v31
	v_fmac_f32_e32 v54, 0x3f68dda4, v41
	v_mov_b32_e32 v55, v66
	v_add_f32_e32 v54, v54, v1
	v_fmac_f32_e32 v55, 0x3f4178ce, v45
	v_mul_f32_e32 v67, 0xbf75a155, v35
	v_add_f32_e32 v54, v55, v54
	v_mov_b32_e32 v55, v67
	v_fmac_f32_e32 v55, 0xbe903f40, v46
	v_mul_f32_e32 v68, 0xbe11bafb, v39
	v_add_f32_e32 v54, v55, v54
	v_mov_b32_e32 v55, v68
	;; [unrolled: 4-line block ×3, first 2 shown]
	v_mul_f32_e32 v70, 0xbf4178ce, v50
	v_fmac_f32_e32 v55, 0x3ed4b147, v25
	v_mov_b32_e32 v56, v70
	v_add_f32_e32 v55, v55, v0
	v_fmac_f32_e32 v56, 0xbf27a4f4, v28
	v_mul_f32_e32 v71, 0x3e903f40, v51
	v_add_f32_e32 v55, v56, v55
	v_mov_b32_e32 v56, v71
	v_fmac_f32_e32 v56, 0xbf75a155, v34
	v_mul_f32_e32 v72, 0x3f7d64f0, v52
	v_add_f32_e32 v55, v56, v55
	v_mov_b32_e32 v56, v72
	;; [unrolled: 4-line block ×5, first 2 shown]
	v_mul_f32_e32 v64, 0xbf75a155, v31
	v_fmac_f32_e32 v56, 0x3f7d64f0, v41
	v_mov_b32_e32 v57, v64
	v_add_f32_e32 v56, v56, v1
	v_fmac_f32_e32 v57, 0xbe903f40, v45
	v_mul_f32_e32 v75, 0x3ed4b147, v35
	v_add_f32_e32 v56, v57, v56
	v_mov_b32_e32 v57, v75
	v_fmac_f32_e32 v57, 0xbf68dda4, v46
	v_mul_f32_e32 v76, 0x3f575c64, v39
	v_add_f32_e32 v56, v57, v56
	v_mov_b32_e32 v57, v76
	;; [unrolled: 4-line block ×3, first 2 shown]
	v_mul_f32_e32 v78, 0x3e903f40, v50
	v_fmac_f32_e32 v57, 0xbe11bafb, v25
	v_mov_b32_e32 v59, v78
	v_add_f32_e32 v57, v57, v0
	v_fmac_f32_e32 v59, 0xbf75a155, v28
	v_mul_f32_e32 v79, 0x3f68dda4, v51
	v_add_f32_e32 v57, v59, v57
	v_mov_b32_e32 v59, v79
	v_fmac_f32_e32 v59, 0x3ed4b147, v34
	v_mul_f32_e32 v80, 0xbf0a6770, v52
	v_add_f32_e32 v57, v59, v57
	v_mov_b32_e32 v59, v80
	;; [unrolled: 4-line block ×5, first 2 shown]
	v_mul_f32_e32 v62, 0xbe11bafb, v31
	v_fmac_f32_e32 v59, 0x3f4178ce, v41
	v_mov_b32_e32 v60, v62
	v_add_f32_e32 v59, v59, v1
	v_fmac_f32_e32 v60, 0xbf7d64f0, v45
	v_mul_f32_e32 v85, 0x3f575c64, v35
	v_add_f32_e32 v59, v60, v59
	v_mov_b32_e32 v60, v85
	v_fmac_f32_e32 v60, 0x3f0a6770, v46
	v_mul_f32_e32 v87, 0xbf75a155, v39
	v_add_f32_e32 v59, v60, v59
	v_mov_b32_e32 v60, v87
	;; [unrolled: 4-line block ×3, first 2 shown]
	v_mul_f32_e32 v89, 0x3f7d64f0, v50
	v_fmac_f32_e32 v60, 0xbf27a4f4, v25
	v_mov_b32_e32 v90, v89
	v_add_f32_e32 v60, v60, v0
	v_fmac_f32_e32 v90, 0xbe11bafb, v28
	v_add_f32_e32 v60, v90, v60
	v_mul_f32_e32 v90, 0xbf0a6770, v51
	v_mov_b32_e32 v91, v90
	v_fmac_f32_e32 v91, 0x3f575c64, v34
	v_add_f32_e32 v60, v91, v60
	v_mul_f32_e32 v91, 0xbe903f40, v52
	v_mov_b32_e32 v92, v91
	v_fmac_f32_e32 v92, 0xbf75a155, v38
	v_mul_f32_e32 v93, 0x3ed4b147, v43
	v_add_f32_e32 v92, v92, v60
	v_mov_b32_e32 v60, v93
	v_fmac_f32_e32 v60, 0xbf68dda4, v48
	v_mul_f32_e32 v94, 0x3f68dda4, v53
	v_add_f32_e32 v60, v60, v59
	v_mov_b32_e32 v59, v94
	v_fmac_f32_e32 v59, 0x3ed4b147, v42
	v_add_f32_e32 v59, v59, v92
	v_mul_f32_e32 v92, 0xbf75a155, v27
	v_mov_b32_e32 v95, v92
	v_mul_f32_e32 v96, 0x3f575c64, v31
	v_fmac_f32_e32 v95, 0x3e903f40, v41
	v_mov_b32_e32 v97, v96
	v_add_f32_e32 v95, v95, v1
	v_fmac_f32_e32 v97, 0xbf0a6770, v45
	v_add_f32_e32 v95, v97, v95
	v_mul_f32_e32 v97, 0xbf27a4f4, v35
	v_mov_b32_e32 v98, v97
	v_fmac_f32_e32 v98, 0x3f4178ce, v46
	v_add_f32_e32 v95, v98, v95
	v_mul_f32_e32 v98, 0x3ed4b147, v39
	v_mov_b32_e32 v99, v98
	v_fmac_f32_e32 v99, 0xbf68dda4, v47
	v_add_f32_e32 v95, v99, v95
	v_mul_f32_e32 v99, 0xbe903f40, v49
	v_mov_b32_e32 v49, v99
	v_mul_f32_e32 v100, 0x3f0a6770, v50
	v_fmac_f32_e32 v49, 0xbf75a155, v25
	v_mov_b32_e32 v50, v100
	v_add_f32_e32 v49, v49, v0
	v_fmac_f32_e32 v50, 0x3f575c64, v28
	v_mul_f32_e32 v51, 0xbf4178ce, v51
	v_add_f32_e32 v49, v50, v49
	v_mov_b32_e32 v50, v51
	v_fmac_f32_e32 v50, 0xbf27a4f4, v34
	v_mul_f32_e32 v52, 0x3f68dda4, v52
	v_add_f32_e32 v49, v50, v49
	v_mov_b32_e32 v50, v52
	;; [unrolled: 4-line block ×4, first 2 shown]
	v_fmac_f32_e32 v95, 0xbe11bafb, v42
	v_fmac_f32_e32 v92, 0xbe903f40, v41
	v_add_f32_e32 v49, v95, v49
	v_add_f32_e32 v92, v92, v1
	v_fmac_f32_e32 v96, 0x3f0a6770, v45
	v_fma_f32 v95, v25, s16, -v99
	v_add_f32_e32 v92, v96, v92
	v_add_f32_e32 v95, v95, v0
	v_fma_f32 v96, v28, s6, -v100
	v_add_f32_e32 v95, v96, v95
	v_fma_f32 v51, v34, s15, -v51
	;; [unrolled: 2-line block ×4, first 2 shown]
	v_fmac_f32_e32 v61, 0xbf4178ce, v41
	v_add_f32_e32 v51, v53, v51
	v_add_f32_e32 v53, v61, v1
	v_fmac_f32_e32 v62, 0x3f7d64f0, v45
	v_fma_f32 v61, v25, s15, -v88
	v_add_f32_e32 v53, v62, v53
	v_fmac_f32_e32 v85, 0xbf0a6770, v46
	v_add_f32_e32 v61, v61, v0
	v_fma_f32 v62, v28, s14, -v89
	v_mul_f32_e32 v27, 0x3f575c64, v27
	v_add_f32_e32 v53, v85, v53
	v_fmac_f32_e32 v87, 0xbe903f40, v47
	v_add_f32_e32 v61, v62, v61
	v_fma_f32 v62, v34, s6, -v90
	v_add_f32_e32 v27, v30, v27
	v_mul_f32_e32 v30, 0x3ed4b147, v31
	v_add_f32_e32 v53, v87, v53
	v_add_f32_e32 v61, v62, v61
	v_fma_f32 v62, v38, s16, -v91
	v_fmac_f32_e32 v93, 0x3f68dda4, v48
	v_add_f32_e32 v30, v32, v30
	v_add_f32_e32 v27, v27, v1
	v_add_f32_e32 v61, v62, v61
	v_add_f32_e32 v62, v93, v53
	v_fma_f32 v53, v42, s7, -v94
	v_fmac_f32_e32 v63, 0xbf7d64f0, v41
	v_add_f32_e32 v27, v30, v27
	v_mul_f32_e32 v30, 0x3f575c64, v25
	v_add_f32_e32 v61, v53, v61
	v_add_f32_e32 v53, v63, v1
	v_fmac_f32_e32 v64, 0x3e903f40, v45
	v_fma_f32 v63, v25, s14, -v77
	v_fmac_f32_e32 v65, 0xbf68dda4, v41
	v_fmac_f32_e32 v66, 0xbf4178ce, v45
	v_fma_f32 v45, v25, s7, -v69
	v_sub_f32_e32 v24, v30, v24
	v_add_f32_e32 v63, v63, v0
	v_add_f32_e32 v41, v65, v1
	;; [unrolled: 1-line block ×12, first 2 shown]
	v_fmac_f32_e32 v97, 0xbf4178ce, v46
	v_add_f32_e32 v53, v64, v53
	v_fmac_f32_e32 v75, 0x3f68dda4, v46
	v_fma_f32 v64, v28, s16, -v78
	v_fmac_f32_e32 v67, 0x3e903f40, v46
	v_fma_f32 v46, v28, s15, -v70
	v_mul_f32_e32 v28, 0x3ed4b147, v28
	v_add_f32_e32 v1, v11, v1
	v_add_f32_e32 v0, v10, v0
	v_mul_f32_e32 v31, 0xbe11bafb, v34
	v_mul_f32_e32 v25, 0xbe11bafb, v35
	v_sub_f32_e32 v26, v28, v26
	v_add_f32_e32 v1, v13, v1
	v_add_f32_e32 v0, v12, v0
	v_add_f32_e32 v63, v64, v63
	v_fma_f32 v64, v34, s7, -v79
	v_add_f32_e32 v41, v66, v41
	v_add_f32_e32 v45, v46, v45
	v_fma_f32 v46, v34, s16, -v71
	v_mul_f32_e32 v32, 0xbf27a4f4, v38
	v_mul_f32_e32 v34, 0xbf27a4f4, v39
	v_add_f32_e32 v25, v36, v25
	v_add_f32_e32 v24, v26, v24
	v_sub_f32_e32 v26, v31, v29
	v_add_f32_e32 v1, v15, v1
	v_add_f32_e32 v0, v14, v0
	;; [unrolled: 1-line block ×3, first 2 shown]
	v_fmac_f32_e32 v76, 0xbf0a6770, v47
	v_add_f32_e32 v63, v64, v63
	v_fma_f32 v64, v38, s6, -v80
	v_add_f32_e32 v41, v67, v41
	v_fmac_f32_e32 v68, 0x3f7d64f0, v47
	v_add_f32_e32 v45, v46, v45
	v_fma_f32 v46, v38, s14, -v72
	v_mul_f32_e32 v35, 0xbf75a155, v42
	v_mul_f32_e32 v38, 0xbf75a155, v43
	v_add_f32_e32 v25, v25, v27
	v_add_f32_e32 v27, v40, v34
	;; [unrolled: 1-line block ×3, first 2 shown]
	v_sub_f32_e32 v26, v32, v33
	v_add_f32_e32 v1, v17, v1
	v_add_f32_e32 v0, v16, v0
	;; [unrolled: 1-line block ×3, first 2 shown]
	v_fmac_f32_e32 v98, 0x3f68dda4, v47
	v_add_f32_e32 v53, v76, v53
	v_fmac_f32_e32 v81, 0xbf4178ce, v48
	v_add_f32_e32 v41, v68, v41
	v_fmac_f32_e32 v73, 0x3f0a6770, v48
	v_add_f32_e32 v25, v27, v25
	v_add_f32_e32 v27, v44, v38
	v_add_f32_e32 v24, v26, v24
	v_sub_f32_e32 v26, v35, v37
	v_add_f32_e32 v1, v19, v1
	v_add_f32_e32 v0, v18, v0
	;; [unrolled: 1-line block ×3, first 2 shown]
	v_fmac_f32_e32 v101, 0xbf7d64f0, v48
	v_add_f32_e32 v63, v64, v63
	v_add_f32_e32 v64, v81, v53
	v_fma_f32 v53, v42, s15, -v82
	v_add_f32_e32 v45, v46, v45
	v_add_f32_e32 v46, v73, v41
	v_fma_f32 v41, v42, s6, -v74
	v_add_f32_e32 v25, v27, v25
	v_add_f32_e32 v24, v26, v24
	;; [unrolled: 1-line block ×4, first 2 shown]
	v_lshlrev_b32_e32 v2, 3, v86
	v_add_f32_e32 v52, v101, v92
	v_add_f32_e32 v63, v53, v63
	;; [unrolled: 1-line block ×3, first 2 shown]
	ds_write2_b64 v2, v[0:1], v[24:25] offset1:1
	ds_write2_b64 v2, v[45:46], v[63:64] offset0:2 offset1:3
	ds_write2_b64 v2, v[61:62], v[51:52] offset0:4 offset1:5
	;; [unrolled: 1-line block ×4, first 2 shown]
	ds_write_b64 v2, v[22:23] offset:80
.LBB0_7:
	s_or_b64 exec, exec, s[4:5]
	s_load_dwordx4 s[4:7], s[2:3], 0x0
	s_movk_i32 s2, 0x1ce
	v_add_co_u32_e32 v2, vcc, s2, v84
	s_movk_i32 s2, 0x268
	v_add_co_u32_e32 v3, vcc, s2, v84
	s_movk_i32 s2, 0x75
	v_mul_lo_u16_sdwa v0, v84, s2 dst_sel:DWORD dst_unused:UNUSED_PAD src0_sel:BYTE_0 src1_sel:DWORD
	v_sub_u16_sdwa v4, v84, v0 dst_sel:DWORD dst_unused:UNUSED_PAD src0_sel:DWORD src1_sel:BYTE_1
	v_add_co_u32_e32 v1, vcc, 0x134, v84
	v_lshrrev_b16_e32 v4, 1, v4
	s_mov_b32 s2, 0xba2f
	v_and_b32_e32 v4, 0x7f, v4
	v_mul_u32_u24_sdwa v6, v1, s2 dst_sel:DWORD dst_unused:UNUSED_PAD src0_sel:WORD_0 src1_sel:DWORD
	v_add_u16_sdwa v0, v4, v0 dst_sel:DWORD dst_unused:UNUSED_PAD src0_sel:DWORD src1_sel:BYTE_1
	v_lshrrev_b32_e32 v32, 19, v6
	v_lshrrev_b16_e32 v24, 3, v0
	v_mul_lo_u16_e32 v6, 11, v32
	v_mul_lo_u16_e32 v0, 11, v24
	v_sub_u16_e32 v33, v1, v6
	v_mul_u32_u24_sdwa v1, v3, s2 dst_sel:DWORD dst_unused:UNUSED_PAD src0_sel:WORD_0 src1_sel:DWORD
	v_sub_u16_e32 v0, v84, v0
	v_add_u16_e32 v52, 0x9a, v84
	v_lshrrev_b32_e32 v34, 19, v1
	v_and_b32_e32 v25, 0xff, v0
	v_mul_u32_u24_e32 v0, 0xba2f, v52
	v_mul_lo_u16_e32 v1, 11, v34
	v_lshrrev_b32_e32 v26, 19, v0
	v_sub_u16_e32 v35, v3, v1
	v_mul_u32_u24_sdwa v3, v2, s2 dst_sel:DWORD dst_unused:UNUSED_PAD src0_sel:WORD_0 src1_sel:DWORD
	v_mul_lo_u16_e32 v5, 11, v26
	v_lshrrev_b32_e32 v36, 19, v3
	v_lshlrev_b32_e32 v4, 3, v25
	v_sub_u16_e32 v27, v52, v5
	v_lshlrev_b32_e32 v1, 3, v35
	v_mul_lo_u16_e32 v3, 11, v36
	s_waitcnt lgkmcnt(0)
	s_barrier
	v_lshlrev_b32_e32 v5, 3, v27
	global_load_dwordx2 v[59:60], v1, s[12:13]
	global_load_dwordx2 v[67:68], v4, s[12:13]
	v_lshlrev_b32_e32 v1, 3, v33
	v_sub_u16_e32 v37, v2, v3
	global_load_dwordx2 v[65:66], v5, s[12:13]
	global_load_dwordx2 v[63:64], v1, s[12:13]
	v_lshlrev_b32_e32 v1, 3, v37
	global_load_dwordx2 v[61:62], v1, s[12:13]
	v_mov_b32_e32 v1, 3
	v_lshlrev_b32_sdwa v85, v1, v84 dst_sel:DWORD dst_unused:UNUSED_PAD src0_sel:DWORD src1_sel:WORD_0
	v_add_u32_e32 v6, 0x2400, v85
	ds_read2_b64 v[6:9], v6 offset0:80 offset1:234
	v_add_u32_e32 v1, 0x1200, v85
	v_add_u32_e32 v14, 0x1c00, v85
	;; [unrolled: 1-line block ×3, first 2 shown]
	ds_read2_b64 v[2:5], v85 offset1:154
	ds_read2_b64 v[10:13], v1 offset0:40 offset1:194
	ds_read2_b64 v[14:17], v14 offset0:28 offset1:182
	;; [unrolled: 1-line block ×3, first 2 shown]
	s_waitcnt vmcnt(0) lgkmcnt(0)
	s_barrier
	s_movk_i32 s2, 0x42
	v_cmp_gt_u16_e64 s[2:3], s2, v84
                                        ; implicit-def: $vgpr46
                                        ; implicit-def: $vgpr50
	v_mul_f32_e32 v28, v9, v60
	v_mul_f32_e32 v30, v8, v60
	v_fma_f32 v31, v8, v59, -v28
	v_mul_f32_e32 v8, v13, v68
	v_mul_f32_e32 v28, v15, v66
	v_fmac_f32_e32 v30, v9, v59
	v_mul_f32_e32 v9, v12, v68
	v_mul_f32_e32 v40, v7, v62
	;; [unrolled: 1-line block ×4, first 2 shown]
	v_fma_f32 v8, v12, v67, -v8
	v_fma_f32 v12, v14, v65, -v28
	;; [unrolled: 1-line block ×3, first 2 shown]
	v_mul_f32_e32 v38, v17, v64
	v_fmac_f32_e32 v9, v13, v67
	v_fmac_f32_e32 v29, v15, v65
	;; [unrolled: 1-line block ×3, first 2 shown]
	v_sub_f32_e32 v28, v20, v14
	v_mul_f32_e32 v39, v16, v64
	v_fma_f32 v13, v16, v63, -v38
	v_sub_f32_e32 v7, v3, v9
	v_sub_f32_e32 v9, v5, v29
	;; [unrolled: 1-line block ×3, first 2 shown]
	v_fma_f32 v16, v20, 2.0, -v28
	v_sub_f32_e32 v20, v10, v31
	v_fmac_f32_e32 v39, v17, v63
	v_sub_f32_e32 v6, v2, v8
	v_fma_f32 v17, v21, 2.0, -v29
	v_sub_f32_e32 v21, v11, v30
	v_fma_f32 v30, v10, 2.0, -v20
	v_mul_u32_u24_e32 v10, 22, v24
	v_fma_f32 v2, v2, 2.0, -v6
	v_fma_f32 v3, v3, 2.0, -v7
	v_add_lshl_u32 v89, v10, v25, 3
	ds_write2_b64 v89, v[2:3], v[6:7] offset1:11
	v_mad_legacy_u16 v2, v26, 22, v27
	v_lshlrev_b32_e32 v90, 3, v2
	v_mad_legacy_u16 v2, v32, 22, v33
	v_lshlrev_b32_e32 v91, 3, v2
	v_mad_legacy_u16 v2, v36, 22, v37
	v_sub_f32_e32 v8, v4, v12
	v_sub_f32_e32 v12, v18, v13
	;; [unrolled: 1-line block ×3, first 2 shown]
	v_lshlrev_b32_e32 v92, 3, v2
	v_mad_legacy_u16 v2, v34, 22, v35
	v_fma_f32 v4, v4, 2.0, -v8
	v_fma_f32 v5, v5, 2.0, -v9
	;; [unrolled: 1-line block ×5, first 2 shown]
	v_lshlrev_b32_e32 v93, 3, v2
	v_add_u32_e32 v2, 0xd00, v85
	ds_write2_b64 v90, v[4:5], v[8:9] offset1:11
	ds_write2_b64 v91, v[14:15], v[12:13] offset1:11
	;; [unrolled: 1-line block ×4, first 2 shown]
	s_waitcnt lgkmcnt(0)
	s_barrier
	ds_read2_b64 v[36:39], v2 offset0:24 offset1:244
	v_add_u32_e32 v2, 0x1b00, v85
	ds_read2_b64 v[32:35], v85 offset1:220
	ds_read2_b64 v[40:43], v2 offset0:16 offset1:236
	ds_read_b64 v[48:49], v85 offset:10560
	s_and_saveexec_b64 s[14:15], s[2:3]
	s_cbranch_execz .LBB0_9
; %bb.8:
	v_add_u32_e32 v2, 0x400, v85
	ds_read2_b64 v[28:31], v2 offset0:26 offset1:246
	ds_read2_b64 v[20:23], v1 offset0:18 offset1:238
	v_add_u32_e32 v1, 0x2000, v85
	ds_read2_b64 v[44:47], v1 offset0:10 offset1:230
	ds_read_b64 v[50:51], v85 offset:11792
.LBB0_9:
	s_or_b64 exec, exec, s[14:15]
	v_lshrrev_b16_e32 v8, 1, v84
	v_and_b32_e32 v8, 0x7f, v8
	v_mul_lo_u16_e32 v8, 0xbb, v8
	v_lshrrev_b32_e32 v87, 20, v0
	v_lshrrev_b16_e32 v57, 11, v8
	v_mul_lo_u16_e32 v0, 22, v87
	v_mul_lo_u16_e32 v8, 22, v57
	v_sub_u16_e32 v88, v52, v0
	v_sub_u16_e32 v8, v84, v8
	v_mul_lo_u16_e32 v0, 48, v88
	v_and_b32_e32 v69, 0xff, v8
	v_mov_b32_e32 v1, s13
	v_add_co_u32_e32 v53, vcc, s12, v0
	v_mad_u64_u32 v[55:56], s[14:15], v69, 48, s[12:13]
	v_addc_co_u32_e32 v54, vcc, 0, v1, vcc
	global_load_dwordx4 v[4:7], v[53:54], off offset:104
	global_load_dwordx4 v[0:3], v[53:54], off offset:120
	;; [unrolled: 1-line block ×6, first 2 shown]
	s_mov_b32 s14, 0x3f5ff5aa
	s_mov_b32 s15, 0x3f3bfb3b
	;; [unrolled: 1-line block ×4, first 2 shown]
	s_waitcnt vmcnt(0) lgkmcnt(0)
	s_barrier
	v_mul_f32_e32 v53, v23, v5
	v_mul_f32_e32 v54, v22, v5
	;; [unrolled: 1-line block ×8, first 2 shown]
	v_fma_f32 v22, v22, v4, -v53
	v_fmac_f32_e32 v54, v23, v4
	v_fma_f32 v23, v44, v6, -v55
	v_fmac_f32_e32 v56, v45, v6
	v_fma_f32 v53, v46, v0, -v70
	v_fma_f32 v55, v50, v2, -v72
	v_fmac_f32_e32 v73, v51, v2
	v_mul_f32_e32 v44, v35, v25
	v_mul_f32_e32 v45, v34, v25
	;; [unrolled: 1-line block ×7, first 2 shown]
	v_fmac_f32_e32 v71, v47, v0
	v_mul_f32_e32 v47, v36, v27
	v_mul_f32_e32 v70, v41, v19
	;; [unrolled: 1-line block ×5, first 2 shown]
	v_fma_f32 v34, v34, v24, -v44
	v_fmac_f32_e32 v45, v35, v24
	v_fma_f32 v35, v36, v26, -v46
	v_fma_f32 v36, v38, v16, -v50
	v_fmac_f32_e32 v51, v39, v16
	v_fma_f32 v38, v42, v12, -v74
	v_fma_f32 v39, v48, v14, -v76
	v_mul_f32_e32 v72, v40, v19
	v_mul_f32_e32 v79, v30, v9
	;; [unrolled: 1-line block ×3, first 2 shown]
	v_fmac_f32_e32 v47, v37, v26
	v_fma_f32 v37, v40, v18, -v70
	v_fmac_f32_e32 v75, v43, v12
	v_fmac_f32_e32 v77, v49, v14
	;; [unrolled: 1-line block ×3, first 2 shown]
	v_add_f32_e32 v21, v34, v39
	v_add_f32_e32 v40, v35, v38
	v_mul_f32_e32 v78, v31, v9
	v_fmac_f32_e32 v72, v41, v18
	v_fmac_f32_e32 v79, v31, v8
	v_add_f32_e32 v31, v45, v77
	v_add_f32_e32 v41, v47, v75
	;; [unrolled: 1-line block ×4, first 2 shown]
	v_sub_f32_e32 v34, v34, v39
	v_sub_f32_e32 v39, v45, v77
	;; [unrolled: 1-line block ×4, first 2 shown]
	v_add_f32_e32 v43, v51, v72
	v_sub_f32_e32 v36, v37, v36
	v_sub_f32_e32 v37, v72, v51
	v_add_f32_e32 v45, v41, v31
	v_sub_f32_e32 v46, v40, v21
	v_sub_f32_e32 v21, v21, v42
	v_sub_f32_e32 v40, v42, v40
	v_add_f32_e32 v42, v42, v44
	v_sub_f32_e32 v47, v41, v31
	;; [unrolled: 4-line block ×3, first 2 shown]
	v_sub_f32_e32 v70, v38, v39
	v_add_f32_e32 v43, v43, v45
	v_add_f32_e32 v38, v32, v42
	v_sub_f32_e32 v50, v36, v35
	v_sub_f32_e32 v37, v39, v37
	v_add_f32_e32 v44, v49, v39
	v_add_f32_e32 v39, v33, v43
	v_mov_b32_e32 v49, v38
	v_add_f32_e32 v48, v36, v35
	v_sub_f32_e32 v36, v34, v36
	v_sub_f32_e32 v35, v35, v34
	v_mul_f32_e32 v21, 0x3f4a47b2, v21
	v_mul_f32_e32 v31, 0x3f4a47b2, v31
	v_mul_f32_e32 v32, 0x3d64c772, v40
	v_mul_f32_e32 v33, 0x3d64c772, v41
	v_mul_f32_e32 v72, 0xbf08b237, v50
	v_mul_f32_e32 v50, 0xbf08b237, v51
	v_fmac_f32_e32 v49, 0xbf955555, v42
	v_mov_b32_e32 v42, v39
	v_add_f32_e32 v34, v48, v34
	v_mul_f32_e32 v45, 0x3f5ff5aa, v35
	v_mul_f32_e32 v48, 0x3f5ff5aa, v70
	v_fmac_f32_e32 v42, 0xbf955555, v43
	v_fma_f32 v32, v46, s15, -v32
	v_fma_f32 v33, v47, s15, -v33
	;; [unrolled: 1-line block ×3, first 2 shown]
	v_fmac_f32_e32 v21, 0x3d64c772, v40
	v_fma_f32 v40, v47, s16, -v31
	v_fmac_f32_e32 v31, 0x3d64c772, v41
	v_fma_f32 v35, v35, s14, -v72
	;; [unrolled: 2-line block ×4, first 2 shown]
	v_fma_f32 v20, v20, v10, -v80
	v_fma_f32 v36, v36, s17, -v45
	;; [unrolled: 1-line block ×3, first 2 shown]
	v_add_f32_e32 v21, v21, v49
	v_add_f32_e32 v31, v31, v42
	;; [unrolled: 1-line block ×3, first 2 shown]
	v_fmac_f32_e32 v72, 0x3ee1c552, v34
	v_fmac_f32_e32 v50, 0x3ee1c552, v44
	;; [unrolled: 1-line block ×3, first 2 shown]
	v_add_f32_e32 v32, v32, v49
	v_add_f32_e32 v48, v43, v49
	;; [unrolled: 1-line block ×3, first 2 shown]
	v_fmac_f32_e32 v36, 0x3ee1c552, v34
	v_fmac_f32_e32 v37, 0x3ee1c552, v44
	v_add_f32_e32 v40, v50, v21
	v_sub_f32_e32 v41, v31, v72
	v_add_f32_e32 v45, v35, v33
	v_sub_f32_e32 v47, v33, v35
	v_sub_f32_e32 v50, v21, v50
	v_add_f32_e32 v51, v72, v31
	v_add_f32_e32 v21, v30, v55
	;; [unrolled: 1-line block ×5, first 2 shown]
	v_fmac_f32_e32 v46, 0x3ee1c552, v44
	v_add_f32_e32 v42, v37, v48
	v_sub_f32_e32 v43, v49, v36
	v_sub_f32_e32 v48, v48, v37
	v_add_f32_e32 v49, v36, v49
	v_sub_f32_e32 v20, v20, v53
	v_add_f32_e32 v36, v22, v23
	v_add_f32_e32 v37, v54, v56
	v_sub_f32_e32 v22, v23, v22
	v_sub_f32_e32 v23, v56, v54
	v_add_f32_e32 v53, v33, v21
	v_add_f32_e32 v54, v34, v31
	v_sub_f32_e32 v44, v32, v46
	v_add_f32_e32 v46, v46, v32
	v_sub_f32_e32 v30, v30, v55
	v_sub_f32_e32 v32, v79, v73
	;; [unrolled: 1-line block ×9, first 2 shown]
	v_add_f32_e32 v21, v22, v20
	v_add_f32_e32 v36, v36, v53
	;; [unrolled: 1-line block ×4, first 2 shown]
	v_sub_f32_e32 v72, v22, v20
	v_sub_f32_e32 v73, v23, v35
	;; [unrolled: 1-line block ×4, first 2 shown]
	v_add_f32_e32 v53, v21, v30
	v_add_f32_e32 v20, v28, v36
	;; [unrolled: 1-line block ×3, first 2 shown]
	v_sub_f32_e32 v74, v30, v22
	v_sub_f32_e32 v75, v32, v23
	v_add_f32_e32 v32, v71, v32
	v_mul_f32_e32 v28, 0x3f4a47b2, v70
	v_mul_f32_e32 v31, 0x3f4a47b2, v31
	;; [unrolled: 1-line block ×8, first 2 shown]
	v_mov_b32_e32 v71, v20
	v_mov_b32_e32 v72, v21
	v_fmac_f32_e32 v71, 0xbf955555, v36
	v_fmac_f32_e32 v72, 0xbf955555, v37
	v_fma_f32 v36, v55, s15, -v29
	v_fma_f32 v37, v56, s15, -v30
	;; [unrolled: 1-line block ×3, first 2 shown]
	v_fmac_f32_e32 v28, 0x3d64c772, v33
	v_fma_f32 v33, v56, s16, -v31
	v_fmac_f32_e32 v31, 0x3d64c772, v34
	v_fma_f32 v34, v76, s14, -v22
	;; [unrolled: 2-line block ×4, first 2 shown]
	v_fma_f32 v30, v75, s17, -v70
	v_add_f32_e32 v28, v28, v71
	v_add_f32_e32 v31, v31, v72
	;; [unrolled: 1-line block ×6, first 2 shown]
	v_fmac_f32_e32 v22, 0x3ee1c552, v53
	v_fmac_f32_e32 v23, 0x3ee1c552, v32
	;; [unrolled: 1-line block ×6, first 2 shown]
	v_mul_u32_u24_e32 v53, 0x9a, v57
	v_sub_f32_e32 v81, v54, v35
	v_add_f32_e32 v82, v34, v56
	v_add_f32_e32 v32, v35, v54
	v_sub_f32_e32 v33, v56, v34
	v_sub_f32_e32 v34, v36, v30
	v_add_f32_e32 v35, v29, v37
	v_sub_f32_e32 v79, v28, v23
	v_add_f32_e32 v80, v22, v31
	v_add_lshl_u32 v94, v53, v69, 3
	ds_write2_b64 v94, v[38:39], v[40:41] offset1:22
	ds_write2_b64 v94, v[42:43], v[44:45] offset0:44 offset1:66
	ds_write2_b64 v94, v[46:47], v[48:49] offset0:88 offset1:110
	ds_write_b64 v94, v[50:51] offset:1056
	s_and_saveexec_b64 s[14:15], s[2:3]
	s_cbranch_execz .LBB0_11
; %bb.10:
	v_sub_f32_e32 v37, v37, v29
	v_sub_f32_e32 v29, v31, v22
	v_mul_u32_u24_e32 v22, 0xba2f, v52
	v_lshrrev_b32_e32 v22, 20, v22
	s_movk_i32 s16, 0x9a
	v_mad_legacy_u16 v22, v22, s16, v88
	v_add_f32_e32 v28, v23, v28
	v_lshlrev_b32_e32 v22, 3, v22
	v_add_f32_e32 v36, v30, v36
	ds_write2_b64 v22, v[20:21], v[28:29] offset1:22
	ds_write2_b64 v22, v[36:37], v[81:82] offset0:44 offset1:66
	ds_write2_b64 v22, v[32:33], v[34:35] offset0:88 offset1:110
	ds_write_b64 v22, v[79:80] offset:1056
.LBB0_11:
	s_or_b64 exec, exec, s[14:15]
	v_lshlrev_b32_e32 v56, 5, v84
	s_waitcnt lgkmcnt(0)
	s_barrier
	global_load_dwordx4 v[28:31], v56, s[12:13] offset:1144
	global_load_dwordx4 v[20:23], v56, s[12:13] offset:1160
	v_add_u32_e32 v57, 0x800, v85
	ds_read2_b64 v[36:39], v85 offset1:154
	v_add_u32_e32 v99, 0x1200, v85
	v_add_u32_e32 v100, 0x1c00, v85
	;; [unrolled: 1-line block ×3, first 2 shown]
	ds_read2_b64 v[40:43], v57 offset0:52 offset1:206
	ds_read2_b64 v[44:47], v99 offset0:40 offset1:194
	;; [unrolled: 1-line block ×4, first 2 shown]
	v_mov_b32_e32 v69, s13
	v_add_co_u32_e32 v56, vcc, s12, v56
	v_addc_co_u32_e32 v69, vcc, 0, v69, vcc
	s_waitcnt vmcnt(0) lgkmcnt(0)
	s_barrier
	s_movk_i32 s12, 0x1000
	v_mul_f32_e32 v70, v41, v29
	v_mul_f32_e32 v72, v45, v31
	;; [unrolled: 1-line block ×10, first 2 shown]
	v_fma_f32 v40, v40, v28, -v70
	v_fma_f32 v70, v44, v30, -v72
	v_fmac_f32_e32 v73, v45, v30
	v_fma_f32 v45, v48, v20, -v74
	v_fma_f32 v48, v52, v22, -v76
	v_mul_f32_e32 v95, v42, v29
	v_mul_f32_e32 v96, v47, v31
	;; [unrolled: 1-line block ×4, first 2 shown]
	v_fmac_f32_e32 v77, v53, v22
	v_fma_f32 v53, v42, v28, -v78
	v_fmac_f32_e32 v97, v47, v30
	v_add_f32_e32 v42, v70, v45
	v_add_f32_e32 v47, v40, v48
	v_mul_f32_e32 v102, v50, v21
	v_mul_f32_e32 v103, v55, v23
	v_fmac_f32_e32 v71, v41, v28
	v_fmac_f32_e32 v75, v49, v20
	v_fma_f32 v72, v46, v30, -v96
	v_fma_f32 v74, v50, v20, -v98
	v_fmac_f32_e32 v104, v55, v22
	v_add_f32_e32 v41, v36, v40
	v_sub_f32_e32 v44, v40, v70
	v_sub_f32_e32 v46, v48, v45
	;; [unrolled: 1-line block ×4, first 2 shown]
	v_fma_f32 v40, -0.5, v42, v36
	v_fma_f32 v36, -0.5, v47, v36
	v_fma_f32 v76, v54, v22, -v103
	v_sub_f32_e32 v49, v73, v75
	v_add_f32_e32 v54, v73, v75
	v_add_f32_e32 v96, v44, v46
	v_mov_b32_e32 v44, v36
	v_fmac_f32_e32 v95, v43, v28
	v_sub_f32_e32 v43, v71, v77
	v_add_f32_e32 v52, v37, v71
	v_add_f32_e32 v78, v41, v70
	v_fma_f32 v41, -0.5, v54, v37
	v_mov_b32_e32 v42, v40
	v_fmac_f32_e32 v36, 0x3f737871, v49
	v_fmac_f32_e32 v44, 0xbf737871, v49
	;; [unrolled: 1-line block ×3, first 2 shown]
	v_sub_f32_e32 v51, v45, v48
	v_add_f32_e32 v46, v52, v73
	v_add_f32_e32 v47, v78, v45
	v_fmac_f32_e32 v40, 0xbf737871, v43
	v_fmac_f32_e32 v42, 0x3f737871, v43
	;; [unrolled: 1-line block ×4, first 2 shown]
	v_mov_b32_e32 v43, v41
	v_add_f32_e32 v50, v50, v51
	v_add_f32_e32 v51, v46, v75
	v_add_f32_e32 v46, v47, v48
	v_fmac_f32_e32 v40, 0xbf167918, v49
	v_fmac_f32_e32 v42, 0x3f167918, v49
	;; [unrolled: 1-line block ×3, first 2 shown]
	v_sub_f32_e32 v48, v70, v45
	v_sub_f32_e32 v45, v71, v73
	;; [unrolled: 1-line block ×3, first 2 shown]
	v_fmac_f32_e32 v41, 0x3f737871, v55
	v_fmac_f32_e32 v43, 0xbf167918, v48
	v_add_f32_e32 v45, v45, v49
	v_fmac_f32_e32 v41, 0x3f167918, v48
	v_fmac_f32_e32 v43, 0x3e9e377a, v45
	;; [unrolled: 1-line block ×3, first 2 shown]
	v_add_f32_e32 v45, v71, v77
	v_fma_f32 v37, -0.5, v45, v37
	v_mov_b32_e32 v45, v37
	v_fmac_f32_e32 v36, 0x3e9e377a, v50
	v_fmac_f32_e32 v44, 0x3e9e377a, v50
	;; [unrolled: 1-line block ×3, first 2 shown]
	v_sub_f32_e32 v49, v73, v71
	v_sub_f32_e32 v50, v75, v77
	v_fmac_f32_e32 v37, 0xbf737871, v48
	v_fmac_f32_e32 v45, 0xbf167918, v55
	v_add_f32_e32 v49, v49, v50
	v_fmac_f32_e32 v37, 0x3f167918, v55
	v_fmac_f32_e32 v45, 0x3e9e377a, v49
	;; [unrolled: 1-line block ×3, first 2 shown]
	v_add_f32_e32 v49, v72, v74
	v_fma_f32 v50, -0.5, v49, v38
	v_sub_f32_e32 v49, v95, v104
	v_mov_b32_e32 v52, v50
	v_add_f32_e32 v47, v51, v77
	v_fmac_f32_e32 v52, 0x3f737871, v49
	v_sub_f32_e32 v51, v97, v102
	v_sub_f32_e32 v54, v53, v72
	v_sub_f32_e32 v55, v76, v74
	v_fmac_f32_e32 v50, 0xbf737871, v49
	v_fmac_f32_e32 v52, 0x3f167918, v51
	v_add_f32_e32 v54, v54, v55
	v_fmac_f32_e32 v50, 0xbf167918, v51
	v_fmac_f32_e32 v52, 0x3e9e377a, v54
	;; [unrolled: 1-line block ×3, first 2 shown]
	v_add_f32_e32 v54, v53, v76
	v_add_f32_e32 v48, v38, v53
	v_fma_f32 v38, -0.5, v54, v38
	v_mov_b32_e32 v54, v38
	v_fmac_f32_e32 v54, 0xbf737871, v51
	v_fmac_f32_e32 v38, 0x3f737871, v51
	v_add_f32_e32 v51, v97, v102
	v_sub_f32_e32 v55, v72, v53
	v_sub_f32_e32 v70, v74, v76
	v_fma_f32 v51, -0.5, v51, v39
	v_fmac_f32_e32 v54, 0x3f167918, v49
	v_add_f32_e32 v55, v55, v70
	v_fmac_f32_e32 v38, 0xbf167918, v49
	v_sub_f32_e32 v70, v53, v76
	v_mov_b32_e32 v53, v51
	v_add_f32_e32 v48, v48, v72
	v_fmac_f32_e32 v54, 0x3e9e377a, v55
	v_fmac_f32_e32 v38, 0x3e9e377a, v55
	;; [unrolled: 1-line block ×3, first 2 shown]
	v_sub_f32_e32 v71, v72, v74
	v_sub_f32_e32 v55, v95, v97
	;; [unrolled: 1-line block ×3, first 2 shown]
	v_fmac_f32_e32 v51, 0x3f737871, v70
	v_fmac_f32_e32 v53, 0xbf167918, v71
	v_add_f32_e32 v55, v55, v72
	v_fmac_f32_e32 v51, 0x3f167918, v71
	v_fmac_f32_e32 v53, 0x3e9e377a, v55
	;; [unrolled: 1-line block ×3, first 2 shown]
	v_add_f32_e32 v55, v95, v104
	v_add_f32_e32 v49, v39, v95
	v_fmac_f32_e32 v39, -0.5, v55
	v_mov_b32_e32 v55, v39
	v_add_f32_e32 v49, v49, v97
	v_fmac_f32_e32 v55, 0x3f737871, v71
	v_sub_f32_e32 v72, v97, v95
	v_sub_f32_e32 v73, v102, v104
	v_fmac_f32_e32 v39, 0xbf737871, v71
	v_fmac_f32_e32 v42, 0x3e9e377a, v96
	v_add_f32_e32 v48, v48, v74
	v_add_f32_e32 v49, v49, v102
	v_fmac_f32_e32 v55, 0xbf167918, v70
	v_add_f32_e32 v72, v72, v73
	v_fmac_f32_e32 v39, 0x3f167918, v70
	v_fmac_f32_e32 v40, 0x3e9e377a, v96
	v_add_f32_e32 v48, v48, v76
	v_add_f32_e32 v49, v49, v104
	v_fmac_f32_e32 v55, 0x3e9e377a, v72
	v_fmac_f32_e32 v39, 0x3e9e377a, v72
	ds_write2_b64 v85, v[46:47], v[42:43] offset1:154
	ds_write2_b64 v57, v[44:45], v[36:37] offset0:52 offset1:206
	ds_write2_b64 v99, v[40:41], v[48:49] offset0:40 offset1:194
	;; [unrolled: 1-line block ×4, first 2 shown]
	v_mul_i32_i24_e32 v37, 0xffffffe8, v84
	v_mul_hi_i32_i24_e32 v36, 0xffffffe8, v84
	v_add_co_u32_e32 v38, vcc, v56, v37
	v_addc_co_u32_e32 v39, vcc, v69, v36, vcc
	v_add_co_u32_e32 v36, vcc, s12, v38
	v_addc_co_u32_e32 v37, vcc, 0, v39, vcc
	s_waitcnt lgkmcnt(0)
	s_barrier
	global_load_dwordx2 v[69:70], v[36:37], off offset:1976
	global_load_dwordx2 v[71:72], v[36:37], off offset:3208
	s_movk_i32 s12, 0x2000
	v_add_co_u32_e32 v36, vcc, s12, v38
	v_addc_co_u32_e32 v37, vcc, 0, v39, vcc
	global_load_dwordx2 v[73:74], v[36:37], off offset:344
	global_load_dwordx2 v[75:76], v[36:37], off offset:1576
	;; [unrolled: 1-line block ×3, first 2 shown]
	ds_read2_b64 v[52:55], v99 offset0:40 offset1:194
	ds_read2_b64 v[42:45], v85 offset1:154
	ds_read2_b64 v[36:39], v100 offset0:28 offset1:182
	ds_read2_b64 v[95:98], v57 offset0:52 offset1:206
	ds_read2_b64 v[46:49], v101 offset0:80 offset1:234
	s_waitcnt vmcnt(4) lgkmcnt(4)
	v_mul_f32_e32 v40, v55, v70
	s_waitcnt vmcnt(3) lgkmcnt(2)
	v_mul_f32_e32 v50, v37, v72
	v_fma_f32 v50, v36, v71, -v50
	v_mul_f32_e32 v51, v36, v72
	v_fma_f32 v40, v54, v69, -v40
	s_waitcnt vmcnt(2)
	v_mul_f32_e32 v36, v39, v74
	v_mul_f32_e32 v41, v54, v70
	v_fma_f32 v54, v38, v73, -v36
	s_waitcnt vmcnt(1) lgkmcnt(0)
	v_mul_f32_e32 v36, v47, v76
	v_fmac_f32_e32 v41, v55, v69
	v_mul_f32_e32 v55, v38, v74
	v_fma_f32 v56, v46, v75, -v36
	v_mul_f32_e32 v102, v46, v76
	s_waitcnt vmcnt(0)
	v_mul_f32_e32 v36, v49, v78
	v_mul_f32_e32 v104, v48, v78
	v_fmac_f32_e32 v51, v37, v71
	v_fmac_f32_e32 v55, v39, v73
	;; [unrolled: 1-line block ×3, first 2 shown]
	v_fma_f32 v103, v48, v77, -v36
	v_fmac_f32_e32 v104, v49, v77
	v_sub_f32_e32 v38, v42, v40
	v_sub_f32_e32 v39, v43, v41
	v_fma_f32 v36, v42, 2.0, -v38
	v_fma_f32 v37, v43, 2.0, -v39
	v_sub_f32_e32 v42, v44, v50
	v_sub_f32_e32 v43, v45, v51
	;; [unrolled: 1-line block ×8, first 2 shown]
	v_fma_f32 v40, v44, 2.0, -v42
	v_fma_f32 v41, v45, 2.0, -v43
	;; [unrolled: 1-line block ×8, first 2 shown]
	ds_write2_b64 v85, v[36:37], v[40:41] offset1:154
	ds_write2_b64 v100, v[42:43], v[46:47] offset0:28 offset1:182
	ds_write2_b64 v57, v[44:45], v[48:49] offset0:52 offset1:206
	;; [unrolled: 1-line block ×4, first 2 shown]
	s_waitcnt lgkmcnt(0)
	s_barrier
	s_and_saveexec_b64 s[12:13], s[0:1]
	s_cbranch_execz .LBB0_13
; %bb.12:
	v_add_co_u32_e32 v103, vcc, s10, v83
	v_mov_b32_e32 v56, s11
	v_addc_co_u32_e32 v104, vcc, 0, v56, vcc
	v_add_co_u32_e32 v99, vcc, 0x3020, v103
	v_addc_co_u32_e32 v100, vcc, 0, v104, vcc
	v_add_co_u32_e32 v95, vcc, 0x3000, v103
	v_addc_co_u32_e32 v96, vcc, 0, v104, vcc
	global_load_dwordx2 v[95:96], v[95:96], off offset:32
	ds_read_b64 v[56:57], v85
	v_add_u32_e32 v105, 0x400, v83
	s_movk_i32 s14, 0x4000
	s_waitcnt vmcnt(0) lgkmcnt(0)
	v_mul_f32_e32 v97, v57, v96
	v_mul_f32_e32 v98, v56, v96
	v_fma_f32 v97, v56, v95, -v97
	v_fmac_f32_e32 v98, v57, v95
	global_load_dwordx2 v[56:57], v[99:100], off offset:1120
	ds_write_b64 v85, v[97:98]
	ds_read2_b64 v[95:98], v105 offset0:12 offset1:152
	s_waitcnt vmcnt(0) lgkmcnt(0)
	v_mul_f32_e32 v101, v96, v57
	v_mul_f32_e32 v102, v95, v57
	v_fma_f32 v101, v95, v56, -v101
	v_fmac_f32_e32 v102, v96, v56
	global_load_dwordx2 v[56:57], v[99:100], off offset:2240
	s_waitcnt vmcnt(0)
	v_mul_f32_e32 v95, v98, v57
	v_mul_f32_e32 v96, v97, v57
	v_fma_f32 v95, v97, v56, -v95
	v_fmac_f32_e32 v96, v98, v56
	global_load_dwordx2 v[56:57], v[99:100], off offset:3360
	ds_write2_b64 v105, v[101:102], v[95:96] offset0:12 offset1:152
	v_add_u32_e32 v105, 0xc00, v83
	ds_read2_b64 v[95:98], v105 offset0:36 offset1:176
	s_waitcnt vmcnt(0) lgkmcnt(0)
	v_mul_f32_e32 v99, v96, v57
	v_mul_f32_e32 v100, v95, v57
	v_fma_f32 v99, v95, v56, -v99
	v_fmac_f32_e32 v100, v96, v56
	v_add_co_u32_e32 v56, vcc, s14, v103
	v_addc_co_u32_e32 v57, vcc, 0, v104, vcc
	global_load_dwordx2 v[95:96], v[56:57], off offset:416
	s_movk_i32 s14, 0x5000
	s_waitcnt vmcnt(0)
	v_mul_f32_e32 v101, v98, v96
	v_mul_f32_e32 v102, v97, v96
	v_fma_f32 v101, v97, v95, -v101
	v_fmac_f32_e32 v102, v98, v95
	ds_write2_b64 v105, v[99:100], v[101:102] offset0:36 offset1:176
	global_load_dwordx2 v[99:100], v[56:57], off offset:1536
	v_add_u32_e32 v105, 0x1400, v83
	ds_read2_b64 v[95:98], v105 offset0:60 offset1:200
	s_waitcnt vmcnt(0) lgkmcnt(0)
	v_mul_f32_e32 v101, v96, v100
	v_mul_f32_e32 v102, v95, v100
	v_fma_f32 v101, v95, v99, -v101
	v_fmac_f32_e32 v102, v96, v99
	global_load_dwordx2 v[95:96], v[56:57], off offset:2656
	s_waitcnt vmcnt(0)
	v_mul_f32_e32 v99, v98, v96
	global_load_dwordx2 v[56:57], v[56:57], off offset:3776
	v_mul_f32_e32 v100, v97, v96
	v_fma_f32 v99, v97, v95, -v99
	v_fmac_f32_e32 v100, v98, v95
	ds_write2_b64 v105, v[101:102], v[99:100] offset0:60 offset1:200
	v_add_u32_e32 v105, 0x1c00, v83
	ds_read2_b64 v[95:98], v105 offset0:84 offset1:224
	s_waitcnt vmcnt(0) lgkmcnt(0)
	v_mul_f32_e32 v99, v96, v57
	v_mul_f32_e32 v100, v95, v57
	v_fma_f32 v99, v95, v56, -v99
	v_fmac_f32_e32 v100, v96, v56
	v_add_co_u32_e32 v56, vcc, s14, v103
	v_addc_co_u32_e32 v57, vcc, 0, v104, vcc
	global_load_dwordx2 v[95:96], v[56:57], off offset:800
	v_add_u32_e32 v103, 0x2400, v83
	s_waitcnt vmcnt(0)
	v_mul_f32_e32 v101, v98, v96
	v_mul_f32_e32 v102, v97, v96
	v_fma_f32 v101, v97, v95, -v101
	v_fmac_f32_e32 v102, v98, v95
	ds_write2_b64 v105, v[99:100], v[101:102] offset0:84 offset1:224
	global_load_dwordx2 v[99:100], v[56:57], off offset:1920
	ds_read2_b64 v[95:98], v103 offset0:108 offset1:248
	global_load_dwordx2 v[56:57], v[56:57], off offset:3040
	s_waitcnt vmcnt(1) lgkmcnt(0)
	v_mul_f32_e32 v101, v96, v100
	v_mul_f32_e32 v102, v95, v100
	v_fma_f32 v101, v95, v99, -v101
	v_fmac_f32_e32 v102, v96, v99
	s_waitcnt vmcnt(0)
	v_mul_f32_e32 v95, v98, v57
	v_mul_f32_e32 v96, v97, v57
	v_fma_f32 v95, v97, v56, -v95
	v_fmac_f32_e32 v96, v98, v56
	ds_write2_b64 v103, v[101:102], v[95:96] offset0:108 offset1:248
.LBB0_13:
	s_or_b64 exec, exec, s[12:13]
	s_waitcnt lgkmcnt(0)
	s_barrier
	s_and_saveexec_b64 s[12:13], s[0:1]
	s_cbranch_execz .LBB0_15
; %bb.14:
	v_add_u32_e32 v40, 0x800, v85
	v_add_u32_e32 v44, 0x1000, v85
	;; [unrolled: 1-line block ×4, first 2 shown]
	ds_read2_b64 v[36:39], v85 offset1:140
	ds_read2_b64 v[40:43], v40 offset0:24 offset1:164
	ds_read2_b64 v[44:47], v44 offset0:48 offset1:188
	;; [unrolled: 1-line block ×4, first 2 shown]
	ds_read_b64 v[81:82], v85 offset:11200
.LBB0_15:
	s_or_b64 exec, exec, s[12:13]
	s_waitcnt lgkmcnt(0)
	v_sub_f32_e32 v115, v39, v82
	v_add_f32_e32 v98, v81, v38
	v_add_f32_e32 v103, v82, v39
	s_mov_b32 s14, 0x3f575c64
	v_mul_f32_e32 v95, 0xbf0a6770, v115
	v_sub_f32_e32 v116, v41, v55
	v_mul_f32_e32 v97, 0x3f575c64, v103
	v_fma_f32 v56, v98, s14, -v95
	v_add_f32_e32 v101, v54, v40
	v_add_f32_e32 v107, v55, v41
	s_mov_b32 s15, 0x3ed4b147
	v_mul_f32_e32 v96, 0xbf68dda4, v116
	v_sub_f32_e32 v118, v38, v81
	v_add_f32_e32 v56, v36, v56
	v_mov_b32_e32 v57, v97
	v_mul_f32_e32 v100, 0x3ed4b147, v107
	v_fma_f32 v99, v101, s15, -v96
	v_fmac_f32_e32 v57, 0xbf0a6770, v118
	v_sub_f32_e32 v119, v40, v54
	v_add_f32_e32 v56, v99, v56
	v_mov_b32_e32 v99, v100
	v_add_f32_e32 v57, v37, v57
	v_fmac_f32_e32 v99, 0xbf68dda4, v119
	v_sub_f32_e32 v117, v43, v53
	v_add_f32_e32 v57, v99, v57
	v_add_f32_e32 v105, v52, v42
	v_add_f32_e32 v110, v53, v43
	s_mov_b32 s16, 0xbe11bafb
	v_mul_f32_e32 v99, 0xbf7d64f0, v117
	v_mul_f32_e32 v104, 0xbe11bafb, v110
	v_fma_f32 v102, v105, s16, -v99
	v_sub_f32_e32 v121, v42, v52
	v_add_f32_e32 v56, v102, v56
	v_mov_b32_e32 v102, v104
	v_fmac_f32_e32 v102, 0xbf7d64f0, v121
	v_sub_f32_e32 v120, v45, v51
	v_add_f32_e32 v57, v102, v57
	v_add_f32_e32 v109, v50, v44
	v_add_f32_e32 v113, v51, v45
	s_mov_b32 s17, 0xbf27a4f4
	v_mul_f32_e32 v102, 0xbf4178ce, v120
	v_mul_f32_e32 v108, 0xbf27a4f4, v113
	v_fma_f32 v106, v109, s17, -v102
	v_sub_f32_e32 v123, v44, v50
	v_add_f32_e32 v56, v106, v56
	v_mov_b32_e32 v106, v108
	v_fmac_f32_e32 v106, 0xbf4178ce, v123
	v_sub_f32_e32 v122, v47, v49
	v_add_f32_e32 v57, v106, v57
	v_add_f32_e32 v112, v48, v46
	v_add_f32_e32 v114, v49, v47
	s_mov_b32 s18, 0xbf75a155
	v_mul_f32_e32 v106, 0xbe903f40, v122
	v_mul_f32_e32 v111, 0xbf75a155, v114
	v_fma_f32 v125, v112, s18, -v106
	v_sub_f32_e32 v124, v46, v48
	v_add_f32_e32 v56, v125, v56
	v_mov_b32_e32 v125, v111
	v_fmac_f32_e32 v125, 0xbe903f40, v124
	v_add_f32_e32 v57, v125, v57
	s_barrier
	s_and_saveexec_b64 s[12:13], s[0:1]
	s_cbranch_execz .LBB0_17
; %bb.16:
	v_mul_f32_e32 v141, 0xbf68dda4, v118
	v_mov_b32_e32 v125, v141
	v_mul_f32_e32 v142, 0xbf4178ce, v119
	v_fmac_f32_e32 v125, 0x3ed4b147, v103
	v_mov_b32_e32 v126, v142
	v_add_f32_e32 v125, v37, v125
	v_fmac_f32_e32 v126, 0xbf27a4f4, v107
	v_mul_f32_e32 v143, 0x3e903f40, v121
	v_add_f32_e32 v125, v126, v125
	v_mov_b32_e32 v126, v143
	v_fmac_f32_e32 v126, 0xbf75a155, v110
	v_mul_f32_e32 v144, 0x3f7d64f0, v123
	v_add_f32_e32 v125, v126, v125
	v_mov_b32_e32 v126, v144
	;; [unrolled: 4-line block ×3, first 2 shown]
	v_fmac_f32_e32 v126, 0x3f575c64, v114
	v_mul_f32_e32 v146, 0xbf68dda4, v115
	v_add_f32_e32 v126, v126, v125
	v_fma_f32 v125, v98, s15, -v146
	v_mul_f32_e32 v147, 0xbf4178ce, v116
	v_add_f32_e32 v125, v36, v125
	v_fma_f32 v127, v101, s17, -v147
	;; [unrolled: 3-line block ×5, first 2 shown]
	v_mul_f32_e32 v151, 0xbf7d64f0, v118
	v_add_f32_e32 v125, v127, v125
	v_mov_b32_e32 v127, v151
	v_mul_f32_e32 v152, 0x3e903f40, v119
	v_fmac_f32_e32 v127, 0xbe11bafb, v103
	v_mov_b32_e32 v128, v152
	v_add_f32_e32 v127, v37, v127
	v_fmac_f32_e32 v128, 0xbf75a155, v107
	v_mul_f32_e32 v153, 0x3f68dda4, v121
	v_add_f32_e32 v127, v128, v127
	v_mov_b32_e32 v128, v153
	v_fmac_f32_e32 v128, 0x3ed4b147, v110
	v_mul_f32_e32 v154, 0xbf0a6770, v123
	v_add_f32_e32 v127, v128, v127
	v_mov_b32_e32 v128, v154
	;; [unrolled: 4-line block ×3, first 2 shown]
	v_fmac_f32_e32 v128, 0xbf27a4f4, v114
	v_mul_f32_e32 v156, 0xbf7d64f0, v115
	v_add_f32_e32 v128, v128, v127
	v_fma_f32 v127, v98, s16, -v156
	v_mul_f32_e32 v157, 0x3e903f40, v116
	v_add_f32_e32 v127, v36, v127
	v_fma_f32 v129, v101, s18, -v157
	;; [unrolled: 3-line block ×5, first 2 shown]
	v_mul_f32_e32 v161, 0xbf4178ce, v118
	v_add_f32_e32 v127, v129, v127
	v_mov_b32_e32 v129, v161
	v_mul_f32_e32 v162, 0x3f7d64f0, v119
	v_fmac_f32_e32 v129, 0xbf27a4f4, v103
	v_mov_b32_e32 v130, v162
	v_add_f32_e32 v129, v37, v129
	v_fmac_f32_e32 v130, 0xbe11bafb, v107
	v_mul_f32_e32 v163, 0xbf0a6770, v121
	v_add_f32_e32 v129, v130, v129
	v_mov_b32_e32 v130, v163
	v_fmac_f32_e32 v130, 0x3f575c64, v110
	v_mul_f32_e32 v164, 0xbe903f40, v123
	v_add_f32_e32 v129, v130, v129
	v_mov_b32_e32 v130, v164
	;; [unrolled: 4-line block ×3, first 2 shown]
	v_fmac_f32_e32 v130, 0x3ed4b147, v114
	v_mul_f32_e32 v166, 0xbf4178ce, v115
	v_add_f32_e32 v130, v130, v129
	v_fma_f32 v129, v98, s17, -v166
	v_mul_f32_e32 v167, 0x3f7d64f0, v116
	v_add_f32_e32 v129, v36, v129
	v_fma_f32 v168, v101, s16, -v167
	v_add_f32_e32 v129, v168, v129
	v_mul_f32_e32 v168, 0xbf0a6770, v117
	v_fma_f32 v169, v105, s14, -v168
	v_add_f32_e32 v129, v169, v129
	v_mul_f32_e32 v169, 0xbe903f40, v120
	;; [unrolled: 3-line block ×4, first 2 shown]
	v_mul_f32_e32 v132, 0xbf0a6770, v118
	v_mul_f32_e32 v134, 0xbf68dda4, v119
	v_mov_b32_e32 v118, v171
	v_mul_f32_e32 v119, 0x3f0a6770, v119
	v_fmac_f32_e32 v118, 0xbf75a155, v103
	v_mov_b32_e32 v172, v119
	v_mul_f32_e32 v136, 0xbf7d64f0, v121
	v_add_f32_e32 v118, v37, v118
	v_fmac_f32_e32 v172, 0x3f575c64, v107
	v_mul_f32_e32 v121, 0xbf4178ce, v121
	v_add_f32_e32 v118, v172, v118
	v_mov_b32_e32 v172, v121
	v_mul_f32_e32 v138, 0xbf4178ce, v123
	v_fmac_f32_e32 v172, 0xbf27a4f4, v110
	v_mul_f32_e32 v123, 0x3f68dda4, v123
	v_add_f32_e32 v118, v172, v118
	v_mov_b32_e32 v172, v123
	v_mul_f32_e32 v140, 0xbe903f40, v124
	v_fmac_f32_e32 v172, 0x3ed4b147, v113
	v_mul_f32_e32 v124, 0xbf7d64f0, v124
	v_add_f32_e32 v118, v172, v118
	v_mov_b32_e32 v172, v124
	v_fmac_f32_e32 v172, 0xbe11bafb, v114
	v_mul_f32_e32 v115, 0xbe903f40, v115
	v_add_f32_e32 v118, v172, v118
	v_fma_f32 v172, v98, s18, -v115
	v_mul_f32_e32 v173, 0x3f0a6770, v116
	v_add_f32_e32 v172, v36, v172
	v_fma_f32 v116, v101, s14, -v173
	v_add_f32_e32 v116, v116, v172
	v_mul_f32_e32 v172, 0xbf4178ce, v117
	v_fma_f32 v117, v105, s17, -v172
	v_mul_f32_e32 v120, 0x3f68dda4, v120
	v_add_f32_e32 v116, v117, v116
	v_fma_f32 v117, v109, s15, -v120
	v_mul_f32_e32 v122, 0xbf7d64f0, v122
	v_add_f32_e32 v116, v117, v116
	v_fma_f32 v117, v112, s16, -v122
	v_add_f32_e32 v117, v117, v116
	v_fma_f32 v116, v103, s18, -v171
	;; [unrolled: 2-line block ×3, first 2 shown]
	v_fmac_f32_e32 v115, 0xbf75a155, v98
	v_add_f32_e32 v116, v119, v116
	v_fma_f32 v119, v110, s17, -v121
	v_add_f32_e32 v115, v36, v115
	v_fmac_f32_e32 v173, 0x3f575c64, v101
	v_add_f32_e32 v116, v119, v116
	v_fma_f32 v119, v113, s15, -v123
	v_add_f32_e32 v115, v173, v115
	;; [unrolled: 4-line block ×3, first 2 shown]
	v_fmac_f32_e32 v120, 0x3ed4b147, v109
	v_add_f32_e32 v116, v119, v116
	v_add_f32_e32 v115, v120, v115
	v_fmac_f32_e32 v122, 0xbe11bafb, v112
	v_fma_f32 v119, v103, s17, -v161
	v_fma_f32 v121, v103, s16, -v151
	v_add_f32_e32 v115, v122, v115
	v_add_f32_e32 v119, v37, v119
	v_fma_f32 v120, v107, s16, -v162
	v_add_f32_e32 v121, v37, v121
	v_fma_f32 v122, v107, s18, -v152
	;; [unrolled: 2-line block ×4, first 2 shown]
	v_mul_f32_e32 v131, 0x3f575c64, v98
	v_add_f32_e32 v119, v120, v119
	v_fma_f32 v120, v113, s18, -v164
	v_add_f32_e32 v121, v122, v121
	v_fma_f32 v122, v113, s14, -v154
	;; [unrolled: 2-line block ×3, first 2 shown]
	v_fmac_f32_e32 v166, 0xbf27a4f4, v98
	v_add_f32_e32 v121, v122, v121
	v_fma_f32 v122, v114, s17, -v155
	v_fmac_f32_e32 v156, 0xbe11bafb, v98
	v_fma_f32 v103, v103, s15, -v141
	v_fmac_f32_e32 v146, 0x3ed4b147, v98
	v_sub_f32_e32 v97, v97, v132
	v_add_f32_e32 v95, v131, v95
	v_add_f32_e32 v120, v120, v119
	;; [unrolled: 1-line block ×11, first 2 shown]
	v_fmac_f32_e32 v147, 0xbf27a4f4, v101
	v_add_f32_e32 v37, v41, v37
	v_add_f32_e32 v36, v40, v36
	v_add_f32_e32 v98, v147, v98
	v_fmac_f32_e32 v148, 0xbf75a155, v105
	v_add_f32_e32 v37, v43, v37
	v_add_f32_e32 v36, v42, v36
	;; [unrolled: 1-line block ×3, first 2 shown]
	v_fmac_f32_e32 v149, 0xbe11bafb, v109
	v_add_f32_e32 v37, v45, v37
	v_add_f32_e32 v36, v44, v36
	v_mul_f32_e32 v133, 0x3ed4b147, v101
	v_add_f32_e32 v98, v149, v98
	v_fmac_f32_e32 v150, 0x3f575c64, v112
	v_add_f32_e32 v37, v47, v37
	v_add_f32_e32 v36, v46, v36
	v_mul_f32_e32 v135, 0xbe11bafb, v105
	v_mul_f32_e32 v137, 0xbf27a4f4, v109
	v_fmac_f32_e32 v169, 0xbf75a155, v109
	v_fmac_f32_e32 v159, 0x3f575c64, v109
	v_add_f32_e32 v109, v150, v98
	v_sub_f32_e32 v98, v100, v134
	v_add_f32_e32 v96, v133, v96
	v_add_f32_e32 v37, v49, v37
	;; [unrolled: 1-line block ×3, first 2 shown]
	v_fmac_f32_e32 v167, 0xbe11bafb, v101
	v_fmac_f32_e32 v157, 0xbf75a155, v101
	v_fma_f32 v107, v107, s17, -v142
	v_add_f32_e32 v97, v98, v97
	v_sub_f32_e32 v98, v104, v136
	v_add_f32_e32 v95, v96, v95
	v_add_f32_e32 v96, v135, v99
	;; [unrolled: 1-line block ×4, first 2 shown]
	v_mul_f32_e32 v139, 0xbf75a155, v112
	v_add_f32_e32 v119, v167, v119
	v_fmac_f32_e32 v168, 0x3f575c64, v105
	v_add_f32_e32 v121, v157, v121
	v_fmac_f32_e32 v158, 0x3ed4b147, v105
	v_add_f32_e32 v103, v107, v103
	v_fma_f32 v107, v110, s18, -v143
	v_add_f32_e32 v97, v98, v97
	v_sub_f32_e32 v98, v108, v138
	v_add_f32_e32 v95, v96, v95
	v_add_f32_e32 v96, v137, v102
	;; [unrolled: 1-line block ×7, first 2 shown]
	v_fma_f32 v107, v113, s16, -v144
	v_add_f32_e32 v97, v98, v97
	v_sub_f32_e32 v98, v111, v140
	v_add_f32_e32 v95, v96, v95
	v_add_f32_e32 v96, v139, v106
	;; [unrolled: 1-line block ×5, first 2 shown]
	v_fmac_f32_e32 v170, 0x3ed4b147, v112
	v_add_f32_e32 v121, v159, v121
	v_fmac_f32_e32 v160, 0xbf27a4f4, v112
	v_add_f32_e32 v103, v107, v103
	v_fma_f32 v107, v114, s14, -v145
	v_add_f32_e32 v97, v98, v97
	v_add_f32_e32 v96, v96, v95
	;; [unrolled: 1-line block ×4, first 2 shown]
	v_lshlrev_b32_e32 v38, 3, v86
	v_add_f32_e32 v119, v170, v119
	v_add_f32_e32 v121, v160, v121
	;; [unrolled: 1-line block ×3, first 2 shown]
	ds_write2_b64 v38, v[36:37], v[96:97] offset1:1
	ds_write2_b64 v38, v[109:110], v[121:122] offset0:2 offset1:3
	ds_write2_b64 v38, v[119:120], v[115:116] offset0:4 offset1:5
	;; [unrolled: 1-line block ×4, first 2 shown]
	ds_write_b64 v38, v[56:57] offset:80
.LBB0_17:
	s_or_b64 exec, exec, s[12:13]
	v_add_u32_e32 v81, 0x1200, v85
	s_waitcnt lgkmcnt(0)
	s_barrier
	ds_read2_b64 v[40:43], v81 offset0:40 offset1:194
	v_add_u32_e32 v44, 0x1c00, v85
	ds_read2_b64 v[44:47], v44 offset0:28 offset1:182
	v_add_u32_e32 v52, 0x2400, v85
	ds_read2_b64 v[52:55], v52 offset0:80 offset1:234
	s_waitcnt lgkmcnt(2)
	v_mul_f32_e32 v82, v68, v43
	ds_read2_b64 v[36:39], v85 offset1:154
	v_add_u32_e32 v48, 0x800, v85
	v_fmac_f32_e32 v82, v67, v42
	v_mul_f32_e32 v42, v68, v42
	ds_read2_b64 v[48:51], v48 offset0:52 offset1:206
	v_fma_f32 v43, v67, v43, -v42
	s_waitcnt lgkmcnt(3)
	v_mul_f32_e32 v67, v66, v45
	v_mul_f32_e32 v42, v66, v44
	v_fmac_f32_e32 v67, v65, v44
	v_fma_f32 v65, v65, v45, -v42
	v_mul_f32_e32 v66, v64, v47
	v_mul_f32_e32 v42, v64, v46
	v_fmac_f32_e32 v66, v63, v46
	v_fma_f32 v63, v63, v47, -v42
	s_waitcnt lgkmcnt(2)
	v_mul_f32_e32 v64, v62, v53
	v_mul_f32_e32 v42, v62, v52
	v_fmac_f32_e32 v64, v61, v52
	v_fma_f32 v61, v61, v53, -v42
	v_mul_f32_e32 v62, v60, v55
	v_mul_f32_e32 v42, v60, v54
	v_fmac_f32_e32 v62, v59, v54
	v_fma_f32 v55, v59, v55, -v42
	s_waitcnt lgkmcnt(1)
	v_sub_f32_e32 v42, v36, v82
	v_sub_f32_e32 v43, v37, v43
	v_fma_f32 v44, v36, 2.0, -v42
	v_fma_f32 v45, v37, 2.0, -v43
	v_sub_f32_e32 v46, v38, v67
	v_sub_f32_e32 v47, v39, v65
	s_waitcnt lgkmcnt(0)
	v_sub_f32_e32 v59, v48, v66
	v_sub_f32_e32 v60, v49, v63
	v_sub_f32_e32 v36, v50, v64
	v_sub_f32_e32 v37, v51, v61
	v_sub_f32_e32 v54, v40, v62
	v_sub_f32_e32 v55, v41, v55
	v_fma_f32 v52, v38, 2.0, -v46
	v_fma_f32 v53, v39, 2.0, -v47
	;; [unrolled: 1-line block ×8, first 2 shown]
	s_barrier
	ds_write2_b64 v89, v[44:45], v[42:43] offset1:11
	ds_write2_b64 v90, v[52:53], v[46:47] offset1:11
	;; [unrolled: 1-line block ×5, first 2 shown]
	v_add_u32_e32 v44, 0xd00, v85
	s_waitcnt lgkmcnt(0)
	s_barrier
	ds_read2_b64 v[48:51], v44 offset0:24 offset1:244
	v_add_u32_e32 v44, 0x1b00, v85
	ds_read2_b64 v[40:43], v85 offset1:220
	ds_read2_b64 v[44:47], v44 offset0:16 offset1:236
	ds_read_b64 v[52:53], v85 offset:10560
	s_and_saveexec_b64 s[12:13], s[2:3]
	s_cbranch_execz .LBB0_19
; %bb.18:
	v_add_u32_e32 v32, 0x400, v85
	ds_read2_b64 v[36:39], v32 offset0:26 offset1:246
	ds_read2_b64 v[54:57], v81 offset0:18 offset1:238
	v_add_u32_e32 v32, 0x2000, v85
	ds_read2_b64 v[32:35], v32 offset0:10 offset1:230
	ds_read_b64 v[79:80], v85 offset:11792
.LBB0_19:
	s_or_b64 exec, exec, s[12:13]
	s_waitcnt lgkmcnt(2)
	v_mul_f32_e32 v59, v25, v43
	v_mul_f32_e32 v25, v25, v42
	v_fmac_f32_e32 v59, v24, v42
	v_fma_f32 v24, v24, v43, -v25
	v_mul_f32_e32 v25, v27, v49
	v_mul_f32_e32 v27, v27, v48
	v_fmac_f32_e32 v25, v26, v48
	v_fma_f32 v26, v26, v49, -v27
	;; [unrolled: 4-line block ×3, first 2 shown]
	s_waitcnt lgkmcnt(1)
	v_mul_f32_e32 v17, v19, v45
	v_mul_f32_e32 v19, v19, v44
	v_fmac_f32_e32 v17, v18, v44
	v_fma_f32 v18, v18, v45, -v19
	v_mul_f32_e32 v19, v13, v47
	v_mul_f32_e32 v13, v13, v46
	v_fmac_f32_e32 v19, v12, v46
	v_fma_f32 v12, v12, v47, -v13
	s_waitcnt lgkmcnt(0)
	v_mul_f32_e32 v13, v15, v53
	v_mul_f32_e32 v15, v15, v52
	v_fmac_f32_e32 v13, v14, v52
	v_fma_f32 v14, v14, v53, -v15
	v_add_f32_e32 v15, v59, v13
	v_add_f32_e32 v42, v24, v14
	v_sub_f32_e32 v14, v24, v14
	v_add_f32_e32 v24, v25, v19
	v_add_f32_e32 v43, v26, v12
	v_sub_f32_e32 v19, v25, v19
	v_sub_f32_e32 v12, v26, v12
	v_add_f32_e32 v25, v27, v17
	v_add_f32_e32 v26, v16, v18
	v_sub_f32_e32 v16, v18, v16
	v_add_f32_e32 v18, v24, v15
	v_sub_f32_e32 v17, v17, v27
	v_add_f32_e32 v27, v43, v42
	v_add_f32_e32 v18, v25, v18
	v_sub_f32_e32 v13, v59, v13
	v_sub_f32_e32 v44, v24, v15
	;; [unrolled: 1-line block ×4, first 2 shown]
	v_add_f32_e32 v46, v17, v19
	v_add_f32_e32 v47, v16, v12
	v_sub_f32_e32 v49, v16, v12
	v_sub_f32_e32 v50, v12, v14
	v_add_f32_e32 v25, v26, v27
	v_add_f32_e32 v12, v40, v18
	v_sub_f32_e32 v45, v43, v42
	v_sub_f32_e32 v42, v42, v26
	v_sub_f32_e32 v43, v26, v43
	v_sub_f32_e32 v48, v17, v19
	v_sub_f32_e32 v17, v13, v17
	v_sub_f32_e32 v19, v19, v13
	v_add_f32_e32 v26, v46, v13
	v_add_f32_e32 v13, v41, v25
	v_mul_f32_e32 v46, 0x3f08b237, v49
	v_mov_b32_e32 v49, v12
	v_sub_f32_e32 v16, v14, v16
	v_mul_f32_e32 v15, 0x3f4a47b2, v15
	v_mul_f32_e32 v27, 0x3f4a47b2, v42
	;; [unrolled: 1-line block ×5, first 2 shown]
	s_mov_b32 s14, 0xbf5ff5aa
	v_fmac_f32_e32 v49, 0xbf955555, v18
	v_mov_b32_e32 v18, v13
	s_mov_b32 s15, 0x3f3bfb3b
	s_mov_b32 s16, 0xbf3bfb3b
	v_add_f32_e32 v14, v47, v14
	v_mul_f32_e32 v47, 0xbf5ff5aa, v19
	v_mul_f32_e32 v48, 0xbf5ff5aa, v50
	v_fmac_f32_e32 v18, 0xbf955555, v25
	v_fma_f32 v25, v44, s15, -v40
	v_fma_f32 v40, v45, s15, -v41
	;; [unrolled: 1-line block ×3, first 2 shown]
	v_fmac_f32_e32 v15, 0x3d64c772, v24
	v_fma_f32 v24, v45, s16, -v27
	v_fmac_f32_e32 v27, 0x3d64c772, v43
	v_fma_f32 v43, v19, s14, -v42
	;; [unrolled: 2-line block ×3, first 2 shown]
	v_fmac_f32_e32 v46, 0xbeae86e6, v16
	s_mov_b32 s17, 0x3eae86e6
	v_fma_f32 v45, v17, s17, -v47
	v_fma_f32 v47, v16, s17, -v48
	v_add_f32_e32 v48, v15, v49
	v_add_f32_e32 v50, v27, v18
	v_fmac_f32_e32 v42, 0xbee1c552, v26
	v_fmac_f32_e32 v46, 0xbee1c552, v14
	v_add_f32_e32 v25, v25, v49
	v_add_f32_e32 v27, v40, v18
	;; [unrolled: 1-line block ×4, first 2 shown]
	v_fmac_f32_e32 v43, 0xbee1c552, v26
	v_fmac_f32_e32 v44, 0xbee1c552, v14
	;; [unrolled: 1-line block ×4, first 2 shown]
	v_add_f32_e32 v14, v46, v48
	v_sub_f32_e32 v15, v50, v42
	v_add_f32_e32 v16, v47, v40
	v_sub_f32_e32 v17, v41, v45
	v_sub_f32_e32 v18, v25, v44
	v_add_f32_e32 v19, v43, v27
	v_add_f32_e32 v24, v44, v25
	v_sub_f32_e32 v25, v27, v43
	v_sub_f32_e32 v26, v40, v47
	v_add_f32_e32 v27, v45, v41
	v_sub_f32_e32 v40, v48, v46
	v_add_f32_e32 v41, v42, v50
	s_barrier
	ds_write2_b64 v94, v[12:13], v[14:15] offset1:22
	ds_write2_b64 v94, v[16:17], v[18:19] offset0:44 offset1:66
	ds_write2_b64 v94, v[24:25], v[26:27] offset0:88 offset1:110
	ds_write_b64 v94, v[40:41] offset:1056
	s_and_saveexec_b64 s[12:13], s[2:3]
	s_cbranch_execz .LBB0_21
; %bb.20:
	v_mul_f32_e32 v13, v3, v80
	v_mul_f32_e32 v3, v3, v79
	;; [unrolled: 1-line block ×3, first 2 shown]
	v_fmac_f32_e32 v13, v2, v79
	v_fma_f32 v2, v2, v80, -v3
	v_mul_f32_e32 v3, v9, v38
	v_fmac_f32_e32 v12, v8, v38
	v_mul_f32_e32 v16, v5, v57
	v_fma_f32 v8, v8, v39, -v3
	v_mul_f32_e32 v3, v5, v56
	v_fmac_f32_e32 v16, v4, v56
	v_fma_f32 v4, v4, v57, -v3
	v_mul_f32_e32 v3, v7, v32
	v_mul_f32_e32 v24, v1, v35
	v_fma_f32 v5, v6, v33, -v3
	v_mul_f32_e32 v1, v1, v34
	v_mul_f32_e32 v15, v7, v33
	;; [unrolled: 1-line block ×3, first 2 shown]
	v_fmac_f32_e32 v24, v0, v34
	v_add_f32_e32 v9, v2, v8
	v_add_f32_e32 v3, v4, v5
	v_fma_f32 v7, v0, v35, -v1
	v_mul_f32_e32 v0, v11, v54
	v_fmac_f32_e32 v15, v6, v32
	v_fmac_f32_e32 v19, v10, v54
	v_sub_f32_e32 v6, v9, v3
	v_fma_f32 v10, v10, v55, -v0
	v_mul_f32_e32 v6, 0x3f4a47b2, v6
	v_add_f32_e32 v11, v7, v10
	v_sub_f32_e32 v0, v3, v11
	v_mov_b32_e32 v33, v6
	v_mul_f32_e32 v32, 0x3d64c772, v0
	v_fmac_f32_e32 v33, 0x3d64c772, v0
	v_add_f32_e32 v0, v11, v9
	v_add_f32_e32 v0, v3, v0
	;; [unrolled: 1-line block ×3, first 2 shown]
	v_mov_b32_e32 v34, v1
	v_sub_f32_e32 v14, v12, v13
	v_fmac_f32_e32 v34, 0xbf955555, v0
	v_add_f32_e32 v12, v13, v12
	v_add_f32_e32 v0, v16, v15
	v_sub_f32_e32 v13, v12, v0
	v_sub_f32_e32 v17, v15, v16
	v_mul_f32_e32 v13, 0x3f4a47b2, v13
	v_add_f32_e32 v15, v24, v19
	v_sub_f32_e32 v25, v19, v24
	v_sub_f32_e32 v16, v0, v15
	v_mov_b32_e32 v24, v13
	v_mul_f32_e32 v19, 0x3d64c772, v16
	v_fmac_f32_e32 v24, 0x3d64c772, v16
	v_add_f32_e32 v16, v15, v12
	v_sub_f32_e32 v18, v14, v17
	v_sub_f32_e32 v26, v17, v25
	v_add_f32_e32 v17, v17, v25
	v_add_f32_e32 v16, v0, v16
	v_sub_f32_e32 v8, v8, v2
	v_sub_f32_e32 v2, v5, v4
	;; [unrolled: 1-line block ×3, first 2 shown]
	v_mul_f32_e32 v26, 0x3f08b237, v26
	v_add_f32_e32 v17, v17, v14
	v_add_f32_e32 v0, v36, v16
	v_sub_f32_e32 v4, v8, v2
	v_sub_f32_e32 v5, v2, v7
	v_add_f32_e32 v2, v2, v7
	v_sub_f32_e32 v14, v25, v14
	v_mov_b32_e32 v27, v26
	v_mov_b32_e32 v35, v0
	v_mul_f32_e32 v10, 0x3f08b237, v5
	v_add_f32_e32 v36, v2, v8
	v_mul_f32_e32 v5, 0xbf5ff5aa, v14
	v_sub_f32_e32 v9, v11, v9
	v_sub_f32_e32 v8, v7, v8
	v_fmac_f32_e32 v27, 0xbeae86e6, v18
	v_fmac_f32_e32 v35, 0xbf955555, v16
	v_fma_f32 v18, v18, s17, -v5
	v_fma_f32 v5, v9, s16, -v6
	v_sub_f32_e32 v6, v15, v12
	v_mul_f32_e32 v7, 0xbf5ff5aa, v8
	v_add_f32_e32 v16, v24, v35
	v_mov_b32_e32 v24, v10
	v_fma_f32 v12, v6, s16, -v13
	v_fma_f32 v13, v4, s17, -v7
	;; [unrolled: 1-line block ×4, first 2 shown]
	v_fmac_f32_e32 v24, 0xbeae86e6, v4
	v_add_f32_e32 v9, v7, v34
	v_fmac_f32_e32 v14, 0xbee1c552, v17
	v_fma_f32 v8, v8, s14, -v10
	v_fma_f32 v6, v6, s15, -v19
	s_movk_i32 s2, 0x9a
	v_fmac_f32_e32 v27, 0xbee1c552, v17
	v_add_f32_e32 v33, v33, v34
	v_fmac_f32_e32 v24, 0xbee1c552, v36
	v_add_f32_e32 v12, v12, v35
	v_fmac_f32_e32 v13, 0xbee1c552, v36
	v_sub_f32_e32 v7, v9, v14
	v_fmac_f32_e32 v8, 0xbee1c552, v36
	v_add_f32_e32 v10, v6, v35
	v_add_f32_e32 v9, v14, v9
	v_mad_legacy_u16 v14, v87, s2, v88
	v_fmac_f32_e32 v18, 0xbee1c552, v17
	v_add_f32_e32 v11, v5, v34
	v_sub_f32_e32 v4, v12, v13
	v_add_f32_e32 v6, v8, v10
	v_sub_f32_e32 v8, v10, v8
	v_add_f32_e32 v10, v13, v12
	v_sub_f32_e32 v13, v33, v27
	v_add_f32_e32 v12, v24, v16
	v_lshlrev_b32_e32 v14, 3, v14
	v_add_f32_e32 v3, v27, v33
	v_sub_f32_e32 v2, v16, v24
	v_add_f32_e32 v5, v18, v11
	v_sub_f32_e32 v11, v11, v18
	ds_write2_b64 v14, v[0:1], v[12:13] offset1:22
	ds_write2_b64 v14, v[10:11], v[8:9] offset0:44 offset1:66
	ds_write2_b64 v14, v[6:7], v[4:5] offset0:88 offset1:110
	ds_write_b64 v14, v[2:3] offset:1056
.LBB0_21:
	s_or_b64 exec, exec, s[12:13]
	v_add_u32_e32 v24, 0x800, v85
	s_waitcnt lgkmcnt(0)
	s_barrier
	ds_read2_b64 v[4:7], v24 offset0:52 offset1:206
	v_add_u32_e32 v25, 0x1200, v85
	ds_read2_b64 v[8:11], v25 offset0:40 offset1:194
	v_add_u32_e32 v26, 0x1c00, v85
	;; [unrolled: 2-line block ×3, first 2 shown]
	ds_read2_b64 v[16:19], v27 offset0:80 offset1:234
	s_waitcnt lgkmcnt(3)
	v_mul_f32_e32 v32, v29, v5
	ds_read2_b64 v[0:3], v85 offset1:154
	v_fmac_f32_e32 v32, v28, v4
	v_mul_f32_e32 v4, v29, v4
	v_fma_f32 v33, v28, v5, -v4
	s_waitcnt lgkmcnt(3)
	v_mul_f32_e32 v4, v31, v8
	v_mul_f32_e32 v34, v31, v9
	v_fma_f32 v35, v30, v9, -v4
	s_waitcnt lgkmcnt(2)
	v_mul_f32_e32 v36, v21, v13
	v_mul_f32_e32 v4, v21, v12
	v_fmac_f32_e32 v34, v30, v8
	v_fmac_f32_e32 v36, v20, v12
	v_fma_f32 v12, v20, v13, -v4
	s_waitcnt lgkmcnt(1)
	v_mul_f32_e32 v4, v23, v16
	v_mul_f32_e32 v9, v23, v17
	v_fma_f32 v13, v22, v17, -v4
	v_mul_f32_e32 v17, v29, v7
	v_add_f32_e32 v5, v34, v36
	v_fmac_f32_e32 v17, v28, v6
	v_mul_f32_e32 v4, v29, v6
	s_waitcnt lgkmcnt(0)
	v_fma_f32 v6, -0.5, v5, v0
	v_fmac_f32_e32 v9, v22, v16
	v_fma_f32 v28, v28, v7, -v4
	v_mul_f32_e32 v29, v31, v11
	v_mul_f32_e32 v4, v31, v10
	v_sub_f32_e32 v5, v33, v13
	v_mov_b32_e32 v8, v6
	v_fmac_f32_e32 v29, v30, v10
	v_fma_f32 v30, v30, v11, -v4
	v_fmac_f32_e32 v8, 0xbf737871, v5
	v_sub_f32_e32 v7, v35, v12
	v_sub_f32_e32 v10, v32, v34
	;; [unrolled: 1-line block ×3, first 2 shown]
	v_fmac_f32_e32 v6, 0x3f737871, v5
	v_mul_f32_e32 v31, v21, v15
	v_mul_f32_e32 v4, v21, v14
	v_fmac_f32_e32 v8, 0xbf167918, v7
	v_add_f32_e32 v10, v10, v11
	v_fmac_f32_e32 v6, 0x3f167918, v7
	v_fmac_f32_e32 v31, v20, v14
	v_fma_f32 v20, v20, v15, -v4
	v_mul_f32_e32 v21, v23, v19
	v_mul_f32_e32 v4, v23, v18
	v_fmac_f32_e32 v8, 0x3e9e377a, v10
	v_fmac_f32_e32 v6, 0x3e9e377a, v10
	v_add_f32_e32 v10, v32, v9
	v_fmac_f32_e32 v21, v22, v18
	v_fma_f32 v22, v22, v19, -v4
	v_add_f32_e32 v4, v0, v32
	v_fma_f32 v0, -0.5, v10, v0
	v_mov_b32_e32 v10, v0
	v_add_f32_e32 v4, v4, v34
	v_fmac_f32_e32 v10, 0x3f737871, v7
	v_fmac_f32_e32 v0, 0xbf737871, v7
	v_add_f32_e32 v7, v35, v12
	v_add_f32_e32 v4, v4, v36
	v_sub_f32_e32 v11, v34, v32
	v_sub_f32_e32 v14, v36, v9
	v_fma_f32 v7, -0.5, v7, v1
	v_add_f32_e32 v4, v4, v9
	v_fmac_f32_e32 v10, 0xbf167918, v5
	v_add_f32_e32 v11, v11, v14
	v_fmac_f32_e32 v0, 0x3f167918, v5
	v_sub_f32_e32 v14, v32, v9
	v_mov_b32_e32 v9, v7
	v_fmac_f32_e32 v10, 0x3e9e377a, v11
	v_fmac_f32_e32 v0, 0x3e9e377a, v11
	;; [unrolled: 1-line block ×3, first 2 shown]
	v_sub_f32_e32 v15, v34, v36
	v_sub_f32_e32 v11, v33, v35
	v_sub_f32_e32 v16, v13, v12
	v_fmac_f32_e32 v7, 0xbf737871, v14
	v_fmac_f32_e32 v9, 0x3f167918, v15
	v_add_f32_e32 v11, v11, v16
	v_fmac_f32_e32 v7, 0xbf167918, v15
	v_add_f32_e32 v5, v1, v33
	v_fmac_f32_e32 v9, 0x3e9e377a, v11
	v_fmac_f32_e32 v7, 0x3e9e377a, v11
	v_add_f32_e32 v11, v33, v13
	v_add_f32_e32 v5, v5, v35
	v_fma_f32 v1, -0.5, v11, v1
	v_add_f32_e32 v5, v5, v12
	v_mov_b32_e32 v11, v1
	v_add_f32_e32 v5, v5, v13
	v_fmac_f32_e32 v11, 0xbf737871, v15
	v_sub_f32_e32 v12, v12, v13
	v_fmac_f32_e32 v1, 0x3f737871, v15
	v_add_f32_e32 v13, v29, v31
	v_fmac_f32_e32 v11, 0x3f167918, v14
	v_sub_f32_e32 v16, v35, v33
	v_fmac_f32_e32 v1, 0xbf167918, v14
	v_fma_f32 v14, -0.5, v13, v2
	v_add_f32_e32 v12, v16, v12
	v_sub_f32_e32 v13, v28, v22
	v_mov_b32_e32 v16, v14
	v_fmac_f32_e32 v16, 0xbf737871, v13
	v_sub_f32_e32 v15, v30, v20
	v_sub_f32_e32 v18, v17, v29
	;; [unrolled: 1-line block ×3, first 2 shown]
	v_fmac_f32_e32 v14, 0x3f737871, v13
	v_fmac_f32_e32 v16, 0xbf167918, v15
	v_add_f32_e32 v18, v18, v19
	v_fmac_f32_e32 v14, 0x3f167918, v15
	v_fmac_f32_e32 v16, 0x3e9e377a, v18
	;; [unrolled: 1-line block ×3, first 2 shown]
	v_add_f32_e32 v18, v17, v21
	v_fmac_f32_e32 v11, 0x3e9e377a, v12
	v_fmac_f32_e32 v1, 0x3e9e377a, v12
	v_add_f32_e32 v12, v2, v17
	v_fma_f32 v2, -0.5, v18, v2
	v_mov_b32_e32 v18, v2
	v_add_f32_e32 v12, v12, v29
	v_fmac_f32_e32 v18, 0x3f737871, v15
	v_fmac_f32_e32 v2, 0xbf737871, v15
	v_add_f32_e32 v15, v30, v20
	v_add_f32_e32 v12, v12, v31
	v_sub_f32_e32 v19, v29, v17
	v_sub_f32_e32 v23, v31, v21
	v_fma_f32 v15, -0.5, v15, v3
	v_add_f32_e32 v12, v12, v21
	v_fmac_f32_e32 v18, 0xbf167918, v13
	v_add_f32_e32 v19, v19, v23
	v_fmac_f32_e32 v2, 0x3f167918, v13
	v_sub_f32_e32 v21, v17, v21
	v_mov_b32_e32 v17, v15
	v_fmac_f32_e32 v18, 0x3e9e377a, v19
	v_fmac_f32_e32 v2, 0x3e9e377a, v19
	;; [unrolled: 1-line block ×3, first 2 shown]
	v_sub_f32_e32 v23, v29, v31
	v_sub_f32_e32 v19, v28, v30
	;; [unrolled: 1-line block ×3, first 2 shown]
	v_fmac_f32_e32 v15, 0xbf737871, v21
	v_fmac_f32_e32 v17, 0x3f167918, v23
	v_add_f32_e32 v19, v19, v29
	v_fmac_f32_e32 v15, 0xbf167918, v23
	v_fmac_f32_e32 v17, 0x3e9e377a, v19
	;; [unrolled: 1-line block ×3, first 2 shown]
	v_add_f32_e32 v19, v28, v22
	v_add_f32_e32 v13, v3, v28
	v_fmac_f32_e32 v3, -0.5, v19
	v_add_f32_e32 v13, v13, v30
	v_mov_b32_e32 v19, v3
	v_add_f32_e32 v13, v13, v20
	v_fmac_f32_e32 v19, 0xbf737871, v23
	v_sub_f32_e32 v28, v30, v28
	v_sub_f32_e32 v20, v20, v22
	v_fmac_f32_e32 v3, 0x3f737871, v23
	v_fmac_f32_e32 v19, 0x3f167918, v21
	v_add_f32_e32 v20, v28, v20
	v_fmac_f32_e32 v3, 0xbf167918, v21
	v_add_f32_e32 v13, v13, v22
	v_fmac_f32_e32 v19, 0x3e9e377a, v20
	v_fmac_f32_e32 v3, 0x3e9e377a, v20
	s_barrier
	ds_write2_b64 v85, v[4:5], v[8:9] offset1:154
	ds_write2_b64 v24, v[10:11], v[0:1] offset0:52 offset1:206
	ds_write2_b64 v25, v[6:7], v[12:13] offset0:40 offset1:194
	;; [unrolled: 1-line block ×4, first 2 shown]
	s_waitcnt lgkmcnt(0)
	s_barrier
	ds_read2_b64 v[0:3], v25 offset0:40 offset1:194
	ds_read2_b64 v[4:7], v85 offset1:154
	ds_read2_b64 v[8:11], v26 offset0:28 offset1:182
	ds_read2_b64 v[12:15], v24 offset0:52 offset1:206
	;; [unrolled: 1-line block ×3, first 2 shown]
	s_waitcnt lgkmcnt(4)
	v_mul_f32_e32 v20, v70, v3
	v_fmac_f32_e32 v20, v69, v2
	v_mul_f32_e32 v2, v70, v2
	v_fma_f32 v3, v69, v3, -v2
	s_waitcnt lgkmcnt(2)
	v_mul_f32_e32 v2, v72, v8
	v_mul_f32_e32 v21, v72, v9
	v_fma_f32 v9, v71, v9, -v2
	v_mul_f32_e32 v2, v74, v10
	v_mul_f32_e32 v22, v74, v11
	v_fma_f32 v11, v73, v11, -v2
	s_waitcnt lgkmcnt(0)
	v_mul_f32_e32 v2, v76, v16
	v_fmac_f32_e32 v21, v71, v8
	v_mul_f32_e32 v23, v76, v17
	v_fma_f32 v17, v75, v17, -v2
	v_mul_f32_e32 v28, v78, v19
	v_mul_f32_e32 v2, v78, v18
	v_fmac_f32_e32 v22, v73, v10
	v_fmac_f32_e32 v23, v75, v16
	v_fmac_f32_e32 v28, v77, v18
	v_fma_f32 v19, v77, v19, -v2
	v_sub_f32_e32 v2, v4, v20
	v_sub_f32_e32 v3, v5, v3
	;; [unrolled: 1-line block ×4, first 2 shown]
	v_fma_f32 v4, v4, 2.0, -v2
	v_fma_f32 v5, v5, 2.0, -v3
	;; [unrolled: 1-line block ×4, first 2 shown]
	v_sub_f32_e32 v10, v12, v22
	v_sub_f32_e32 v11, v13, v11
	v_sub_f32_e32 v16, v14, v23
	v_sub_f32_e32 v17, v15, v17
	v_sub_f32_e32 v18, v0, v28
	v_sub_f32_e32 v19, v1, v19
	v_fma_f32 v12, v12, 2.0, -v10
	v_fma_f32 v13, v13, 2.0, -v11
	;; [unrolled: 1-line block ×6, first 2 shown]
	ds_write2_b64 v85, v[4:5], v[6:7] offset1:154
	ds_write2_b64 v26, v[8:9], v[10:11] offset0:28 offset1:182
	ds_write2_b64 v24, v[12:13], v[14:15] offset0:52 offset1:206
	;; [unrolled: 1-line block ×4, first 2 shown]
	s_waitcnt lgkmcnt(0)
	s_barrier
	s_and_b64 exec, exec, s[0:1]
	s_cbranch_execz .LBB0_23
; %bb.22:
	global_load_dwordx2 v[8:9], v83, s[10:11]
	global_load_dwordx2 v[10:11], v83, s[10:11] offset:1120
	global_load_dwordx2 v[12:13], v83, s[10:11] offset:2240
	;; [unrolled: 1-line block ×3, first 2 shown]
	v_mov_b32_e32 v0, s11
	v_mad_u64_u32 v[20:21], s[2:3], s4, v84, 0
	v_add_co_u32_e32 v26, vcc, s10, v83
	v_mad_u64_u32 v[14:15], s[0:1], s6, v58, 0
	s_mul_hi_u32 s6, s4, 0x460
	s_mul_i32 s2, s4, 0x460
	s_movk_i32 s4, 0x1000
	v_addc_co_u32_e32 v27, vcc, 0, v0, vcc
	v_add_co_u32_e32 v22, vcc, s4, v26
	v_addc_co_u32_e32 v23, vcc, 0, v27, vcc
	global_load_dwordx2 v[24:25], v[22:23], off offset:384
	v_add_u32_e32 v1, 0x400, v83
	v_add_u32_e32 v4, 0xc00, v83
	ds_read_b64 v[16:17], v85
	ds_read2_b64 v[0:3], v1 offset0:12 offset1:152
	ds_read2_b64 v[4:7], v4 offset0:36 offset1:176
	global_load_dwordx2 v[28:29], v[22:23], off offset:1504
	global_load_dwordx2 v[30:31], v[22:23], off offset:2624
	;; [unrolled: 1-line block ×3, first 2 shown]
	s_mul_i32 s3, s5, 0x460
	s_add_i32 s3, s6, s3
	s_waitcnt lgkmcnt(2)
	v_mad_u64_u32 v[22:23], s[6:7], s7, v58, v[15:16]
	v_mov_b32_e32 v41, s9
	s_movk_i32 s9, 0x2000
	v_add_co_u32_e32 v26, vcc, s9, v26
	v_addc_co_u32_e32 v27, vcc, 0, v27, vcc
	v_mad_u64_u32 v[34:35], s[4:5], s5, v84, v[21:22]
	global_load_dwordx2 v[35:36], v[26:27], off offset:768
	global_load_dwordx2 v[37:38], v[26:27], off offset:1888
	global_load_dwordx2 v[39:40], v[26:27], off offset:3008
	v_mov_b32_e32 v15, v22
	s_mov_b32 s0, 0xe6bb82fe
	s_mov_b32 s1, 0x3f454725
	v_lshlrev_b64 v[14:15], 3, v[14:15]
	v_mov_b32_e32 v21, v34
	v_lshlrev_b64 v[20:21], 3, v[20:21]
	v_add_co_u32_e32 v14, vcc, s8, v14
	v_addc_co_u32_e32 v15, vcc, v41, v15, vcc
	v_add_co_u32_e32 v14, vcc, v14, v20
	v_addc_co_u32_e32 v15, vcc, v15, v21, vcc
	v_mov_b32_e32 v42, s3
	v_add_co_u32_e32 v20, vcc, s2, v14
	v_addc_co_u32_e32 v21, vcc, v15, v42, vcc
	s_waitcnt vmcnt(10)
	v_mul_f32_e32 v22, v17, v9
	v_mul_f32_e32 v9, v16, v9
	s_waitcnt vmcnt(9) lgkmcnt(1)
	v_mul_f32_e32 v23, v1, v11
	v_mul_f32_e32 v11, v0, v11
	s_waitcnt vmcnt(8)
	v_mul_f32_e32 v26, v3, v13
	v_mul_f32_e32 v13, v2, v13
	v_fmac_f32_e32 v22, v16, v8
	v_fma_f32 v8, v8, v17, -v9
	v_fmac_f32_e32 v23, v0, v10
	v_fma_f32 v10, v10, v1, -v11
	;; [unrolled: 2-line block ×3, first 2 shown]
	v_cvt_f64_f32_e32 v[0:1], v22
	v_cvt_f64_f32_e32 v[2:3], v8
	v_cvt_f64_f32_e32 v[8:9], v23
	v_cvt_f64_f32_e32 v[10:11], v10
	v_mul_f64 v[0:1], v[0:1], s[0:1]
	v_mul_f64 v[2:3], v[2:3], s[0:1]
	;; [unrolled: 1-line block ×4, first 2 shown]
	s_waitcnt vmcnt(7) lgkmcnt(0)
	v_mul_f32_e32 v22, v5, v19
	v_fmac_f32_e32 v22, v4, v18
	v_cvt_f64_f32_e32 v[12:13], v26
	v_cvt_f64_f32_e32 v[16:17], v16
	v_cvt_f32_f64_e32 v0, v[0:1]
	v_cvt_f32_f64_e32 v1, v[2:3]
	;; [unrolled: 1-line block ×3, first 2 shown]
	v_cvt_f64_f32_e32 v[8:9], v22
	v_cvt_f32_f64_e32 v3, v[10:11]
	global_store_dwordx2 v[14:15], v[0:1], off
	global_store_dwordx2 v[20:21], v[2:3], off
	v_mul_f64 v[0:1], v[8:9], s[0:1]
	v_mul_f32_e32 v2, v4, v19
	v_mul_f64 v[12:13], v[12:13], s[0:1]
	v_mul_f64 v[16:17], v[16:17], s[0:1]
	v_fma_f32 v2, v18, v5, -v2
	v_cvt_f64_f32_e32 v[2:3], v2
	v_add_co_u32_e32 v4, vcc, s2, v20
	v_cvt_f32_f64_e32 v8, v[0:1]
	v_mul_f64 v[2:3], v[2:3], s[0:1]
	s_waitcnt vmcnt(8)
	v_mul_f32_e32 v0, v7, v25
	v_fmac_f32_e32 v0, v6, v24
	v_cvt_f32_f64_e32 v10, v[12:13]
	v_cvt_f32_f64_e32 v11, v[16:17]
	v_cvt_f64_f32_e32 v[0:1], v0
	v_mov_b32_e32 v12, s3
	v_mul_f32_e32 v6, v6, v25
	v_addc_co_u32_e32 v5, vcc, v21, v12, vcc
	v_fma_f32 v6, v24, v7, -v6
	global_store_dwordx2 v[4:5], v[10:11], off
	v_cvt_f64_f32_e32 v[6:7], v6
	v_mul_f64 v[10:11], v[0:1], s[0:1]
	v_add_u32_e32 v0, 0x1400, v83
	v_cvt_f32_f64_e32 v9, v[2:3]
	ds_read2_b64 v[0:3], v0 offset0:60 offset1:200
	v_mul_f64 v[6:7], v[6:7], s[0:1]
	v_add_co_u32_e32 v4, vcc, s2, v4
	v_addc_co_u32_e32 v5, vcc, v5, v12, vcc
	global_store_dwordx2 v[4:5], v[8:9], off
	s_waitcnt vmcnt(9) lgkmcnt(0)
	v_mul_f32_e32 v8, v1, v29
	v_fmac_f32_e32 v8, v0, v28
	v_cvt_f64_f32_e32 v[8:9], v8
	v_cvt_f32_f64_e32 v10, v[10:11]
	v_cvt_f32_f64_e32 v11, v[6:7]
	v_mul_f32_e32 v0, v0, v29
	v_mul_f64 v[6:7], v[8:9], s[0:1]
	v_fma_f32 v0, v28, v1, -v0
	v_cvt_f64_f32_e32 v[0:1], v0
	v_add_co_u32_e32 v4, vcc, s2, v4
	v_addc_co_u32_e32 v5, vcc, v5, v12, vcc
	v_mul_f64 v[0:1], v[0:1], s[0:1]
	v_cvt_f32_f64_e32 v6, v[6:7]
	s_waitcnt vmcnt(8)
	v_mul_f32_e32 v7, v3, v31
	v_fmac_f32_e32 v7, v2, v30
	v_mul_f32_e32 v2, v2, v31
	v_fma_f32 v2, v30, v3, -v2
	v_cvt_f64_f32_e32 v[2:3], v2
	v_cvt_f64_f32_e32 v[8:9], v7
	v_cvt_f32_f64_e32 v7, v[0:1]
	v_add_u32_e32 v0, 0x1c00, v83
	global_store_dwordx2 v[4:5], v[10:11], off
	v_mul_f64 v[10:11], v[2:3], s[0:1]
	ds_read2_b64 v[0:3], v0 offset0:84 offset1:224
	v_add_co_u32_e32 v4, vcc, s2, v4
	v_addc_co_u32_e32 v5, vcc, v5, v12, vcc
	global_store_dwordx2 v[4:5], v[6:7], off
	s_waitcnt vmcnt(9) lgkmcnt(0)
	v_mul_f32_e32 v6, v1, v33
	v_fmac_f32_e32 v6, v0, v32
	v_cvt_f64_f32_e32 v[6:7], v6
	v_mul_f64 v[8:9], v[8:9], s[0:1]
	v_mul_f32_e32 v0, v0, v33
	v_fma_f32 v0, v32, v1, -v0
	v_mul_f64 v[6:7], v[6:7], s[0:1]
	v_cvt_f64_f32_e32 v[0:1], v0
	v_add_co_u32_e32 v4, vcc, s2, v4
	v_cvt_f32_f64_e32 v8, v[8:9]
	v_cvt_f32_f64_e32 v9, v[10:11]
	v_mul_f64 v[0:1], v[0:1], s[0:1]
	v_mov_b32_e32 v10, s3
	v_cvt_f32_f64_e32 v6, v[6:7]
	s_waitcnt vmcnt(8)
	v_mul_f32_e32 v7, v3, v36
	v_addc_co_u32_e32 v5, vcc, v5, v10, vcc
	v_fmac_f32_e32 v7, v2, v35
	global_store_dwordx2 v[4:5], v[8:9], off
	v_cvt_f64_f32_e32 v[8:9], v7
	v_mul_f32_e32 v2, v2, v36
	v_fma_f32 v2, v35, v3, -v2
	v_cvt_f64_f32_e32 v[2:3], v2
	v_mul_f64 v[8:9], v[8:9], s[0:1]
	v_cvt_f32_f64_e32 v7, v[0:1]
	v_mov_b32_e32 v0, s3
	v_add_co_u32_e32 v4, vcc, s2, v4
	v_addc_co_u32_e32 v5, vcc, v5, v0, vcc
	v_add_u32_e32 v0, 0x2400, v83
	v_mul_f64 v[10:11], v[2:3], s[0:1]
	ds_read2_b64 v[0:3], v0 offset0:108 offset1:248
	global_store_dwordx2 v[4:5], v[6:7], off
	v_cvt_f32_f64_e32 v6, v[8:9]
	v_add_co_u32_e32 v4, vcc, s2, v4
	s_waitcnt vmcnt(9) lgkmcnt(0)
	v_mul_f32_e32 v8, v1, v38
	v_fmac_f32_e32 v8, v0, v37
	v_mul_f32_e32 v0, v0, v38
	v_fma_f32 v0, v37, v1, -v0
	v_cvt_f32_f64_e32 v7, v[10:11]
	v_cvt_f64_f32_e32 v[8:9], v8
	v_cvt_f64_f32_e32 v[0:1], v0
	v_mov_b32_e32 v10, s3
	v_addc_co_u32_e32 v5, vcc, v5, v10, vcc
	global_store_dwordx2 v[4:5], v[6:7], off
	v_mul_f64 v[6:7], v[8:9], s[0:1]
	v_mul_f64 v[0:1], v[0:1], s[0:1]
	s_waitcnt vmcnt(9)
	v_mul_f32_e32 v8, v3, v40
	v_fmac_f32_e32 v8, v2, v39
	v_mul_f32_e32 v2, v2, v40
	v_fma_f32 v2, v39, v3, -v2
	v_cvt_f64_f32_e32 v[8:9], v8
	v_cvt_f64_f32_e32 v[2:3], v2
	v_cvt_f32_f64_e32 v6, v[6:7]
	v_cvt_f32_f64_e32 v7, v[0:1]
	v_mul_f64 v[0:1], v[8:9], s[0:1]
	v_mul_f64 v[2:3], v[2:3], s[0:1]
	v_mov_b32_e32 v8, s3
	v_add_co_u32_e32 v4, vcc, s2, v4
	v_addc_co_u32_e32 v5, vcc, v5, v8, vcc
	global_store_dwordx2 v[4:5], v[6:7], off
	v_cvt_f32_f64_e32 v0, v[0:1]
	v_cvt_f32_f64_e32 v1, v[2:3]
	v_mov_b32_e32 v3, s3
	v_add_co_u32_e32 v2, vcc, s2, v4
	v_addc_co_u32_e32 v3, vcc, v5, v3, vcc
	global_store_dwordx2 v[2:3], v[0:1], off
.LBB0_23:
	s_endpgm
	.section	.rodata,"a",@progbits
	.p2align	6, 0x0
	.amdhsa_kernel bluestein_single_fwd_len1540_dim1_sp_op_CI_CI
		.amdhsa_group_segment_fixed_size 12320
		.amdhsa_private_segment_fixed_size 0
		.amdhsa_kernarg_size 104
		.amdhsa_user_sgpr_count 6
		.amdhsa_user_sgpr_private_segment_buffer 1
		.amdhsa_user_sgpr_dispatch_ptr 0
		.amdhsa_user_sgpr_queue_ptr 0
		.amdhsa_user_sgpr_kernarg_segment_ptr 1
		.amdhsa_user_sgpr_dispatch_id 0
		.amdhsa_user_sgpr_flat_scratch_init 0
		.amdhsa_user_sgpr_private_segment_size 0
		.amdhsa_uses_dynamic_stack 0
		.amdhsa_system_sgpr_private_segment_wavefront_offset 0
		.amdhsa_system_sgpr_workgroup_id_x 1
		.amdhsa_system_sgpr_workgroup_id_y 0
		.amdhsa_system_sgpr_workgroup_id_z 0
		.amdhsa_system_sgpr_workgroup_info 0
		.amdhsa_system_vgpr_workitem_id 0
		.amdhsa_next_free_vgpr 174
		.amdhsa_next_free_sgpr 19
		.amdhsa_reserve_vcc 1
		.amdhsa_reserve_flat_scratch 0
		.amdhsa_float_round_mode_32 0
		.amdhsa_float_round_mode_16_64 0
		.amdhsa_float_denorm_mode_32 3
		.amdhsa_float_denorm_mode_16_64 3
		.amdhsa_dx10_clamp 1
		.amdhsa_ieee_mode 1
		.amdhsa_fp16_overflow 0
		.amdhsa_exception_fp_ieee_invalid_op 0
		.amdhsa_exception_fp_denorm_src 0
		.amdhsa_exception_fp_ieee_div_zero 0
		.amdhsa_exception_fp_ieee_overflow 0
		.amdhsa_exception_fp_ieee_underflow 0
		.amdhsa_exception_fp_ieee_inexact 0
		.amdhsa_exception_int_div_zero 0
	.end_amdhsa_kernel
	.text
.Lfunc_end0:
	.size	bluestein_single_fwd_len1540_dim1_sp_op_CI_CI, .Lfunc_end0-bluestein_single_fwd_len1540_dim1_sp_op_CI_CI
                                        ; -- End function
	.section	.AMDGPU.csdata,"",@progbits
; Kernel info:
; codeLenInByte = 13696
; NumSgprs: 23
; NumVgprs: 174
; ScratchSize: 0
; MemoryBound: 0
; FloatMode: 240
; IeeeMode: 1
; LDSByteSize: 12320 bytes/workgroup (compile time only)
; SGPRBlocks: 2
; VGPRBlocks: 43
; NumSGPRsForWavesPerEU: 23
; NumVGPRsForWavesPerEU: 174
; Occupancy: 1
; WaveLimiterHint : 1
; COMPUTE_PGM_RSRC2:SCRATCH_EN: 0
; COMPUTE_PGM_RSRC2:USER_SGPR: 6
; COMPUTE_PGM_RSRC2:TRAP_HANDLER: 0
; COMPUTE_PGM_RSRC2:TGID_X_EN: 1
; COMPUTE_PGM_RSRC2:TGID_Y_EN: 0
; COMPUTE_PGM_RSRC2:TGID_Z_EN: 0
; COMPUTE_PGM_RSRC2:TIDIG_COMP_CNT: 0
	.type	__hip_cuid_f1d561d5aed3c623,@object ; @__hip_cuid_f1d561d5aed3c623
	.section	.bss,"aw",@nobits
	.globl	__hip_cuid_f1d561d5aed3c623
__hip_cuid_f1d561d5aed3c623:
	.byte	0                               ; 0x0
	.size	__hip_cuid_f1d561d5aed3c623, 1

	.ident	"AMD clang version 19.0.0git (https://github.com/RadeonOpenCompute/llvm-project roc-6.4.0 25133 c7fe45cf4b819c5991fe208aaa96edf142730f1d)"
	.section	".note.GNU-stack","",@progbits
	.addrsig
	.addrsig_sym __hip_cuid_f1d561d5aed3c623
	.amdgpu_metadata
---
amdhsa.kernels:
  - .args:
      - .actual_access:  read_only
        .address_space:  global
        .offset:         0
        .size:           8
        .value_kind:     global_buffer
      - .actual_access:  read_only
        .address_space:  global
        .offset:         8
        .size:           8
        .value_kind:     global_buffer
      - .actual_access:  read_only
        .address_space:  global
        .offset:         16
        .size:           8
        .value_kind:     global_buffer
      - .actual_access:  read_only
        .address_space:  global
        .offset:         24
        .size:           8
        .value_kind:     global_buffer
      - .actual_access:  read_only
        .address_space:  global
        .offset:         32
        .size:           8
        .value_kind:     global_buffer
      - .offset:         40
        .size:           8
        .value_kind:     by_value
      - .address_space:  global
        .offset:         48
        .size:           8
        .value_kind:     global_buffer
      - .address_space:  global
        .offset:         56
        .size:           8
        .value_kind:     global_buffer
      - .address_space:  global
        .offset:         64
        .size:           8
        .value_kind:     global_buffer
      - .address_space:  global
        .offset:         72
        .size:           8
        .value_kind:     global_buffer
      - .offset:         80
        .size:           4
        .value_kind:     by_value
      - .address_space:  global
        .offset:         88
        .size:           8
        .value_kind:     global_buffer
      - .address_space:  global
        .offset:         96
        .size:           8
        .value_kind:     global_buffer
    .group_segment_fixed_size: 12320
    .kernarg_segment_align: 8
    .kernarg_segment_size: 104
    .language:       OpenCL C
    .language_version:
      - 2
      - 0
    .max_flat_workgroup_size: 154
    .name:           bluestein_single_fwd_len1540_dim1_sp_op_CI_CI
    .private_segment_fixed_size: 0
    .sgpr_count:     23
    .sgpr_spill_count: 0
    .symbol:         bluestein_single_fwd_len1540_dim1_sp_op_CI_CI.kd
    .uniform_work_group_size: 1
    .uses_dynamic_stack: false
    .vgpr_count:     174
    .vgpr_spill_count: 0
    .wavefront_size: 64
amdhsa.target:   amdgcn-amd-amdhsa--gfx906
amdhsa.version:
  - 1
  - 2
...

	.end_amdgpu_metadata
